;; amdgpu-corpus repo=ROCm/rocFFT kind=compiled arch=gfx906 opt=O3
	.text
	.amdgcn_target "amdgcn-amd-amdhsa--gfx906"
	.amdhsa_code_object_version 6
	.protected	fft_rtc_back_len1734_factors_17_17_6_wgs_102_tpt_102_halfLds_dp_op_CI_CI_unitstride_sbrr_dirReg ; -- Begin function fft_rtc_back_len1734_factors_17_17_6_wgs_102_tpt_102_halfLds_dp_op_CI_CI_unitstride_sbrr_dirReg
	.globl	fft_rtc_back_len1734_factors_17_17_6_wgs_102_tpt_102_halfLds_dp_op_CI_CI_unitstride_sbrr_dirReg
	.p2align	8
	.type	fft_rtc_back_len1734_factors_17_17_6_wgs_102_tpt_102_halfLds_dp_op_CI_CI_unitstride_sbrr_dirReg,@function
fft_rtc_back_len1734_factors_17_17_6_wgs_102_tpt_102_halfLds_dp_op_CI_CI_unitstride_sbrr_dirReg: ; @fft_rtc_back_len1734_factors_17_17_6_wgs_102_tpt_102_halfLds_dp_op_CI_CI_unitstride_sbrr_dirReg
; %bb.0:
	s_load_dwordx4 s[12:15], s[4:5], 0x58
	s_load_dwordx4 s[8:11], s[4:5], 0x0
	;; [unrolled: 1-line block ×3, first 2 shown]
	v_mul_u32_u24_e32 v1, 0x283, v0
	v_add_u32_sdwa v6, s6, v1 dst_sel:DWORD dst_unused:UNUSED_PAD src0_sel:DWORD src1_sel:WORD_1
	v_mov_b32_e32 v1, 0
	s_waitcnt lgkmcnt(0)
	v_cmp_lt_u64_e64 s[0:1], s[10:11], 2
	v_mov_b32_e32 v4, 0
	v_mov_b32_e32 v7, v1
	s_and_b64 vcc, exec, s[0:1]
	v_mov_b32_e32 v5, 0
	s_cbranch_vccnz .LBB0_8
; %bb.1:
	s_load_dwordx2 s[0:1], s[4:5], 0x10
	s_add_u32 s2, s18, 8
	s_addc_u32 s3, s19, 0
	s_add_u32 s6, s16, 8
	v_mov_b32_e32 v4, 0
	s_addc_u32 s7, s17, 0
	v_mov_b32_e32 v5, 0
	s_waitcnt lgkmcnt(0)
	s_add_u32 s20, s0, 8
	v_mov_b32_e32 v69, v5
	s_addc_u32 s21, s1, 0
	s_mov_b64 s[22:23], 1
	v_mov_b32_e32 v68, v4
.LBB0_2:                                ; =>This Inner Loop Header: Depth=1
	s_load_dwordx2 s[24:25], s[20:21], 0x0
                                        ; implicit-def: $vgpr70_vgpr71
	s_waitcnt lgkmcnt(0)
	v_or_b32_e32 v2, s25, v7
	v_cmp_ne_u64_e32 vcc, 0, v[1:2]
	s_and_saveexec_b64 s[0:1], vcc
	s_xor_b64 s[26:27], exec, s[0:1]
	s_cbranch_execz .LBB0_4
; %bb.3:                                ;   in Loop: Header=BB0_2 Depth=1
	v_cvt_f32_u32_e32 v2, s24
	v_cvt_f32_u32_e32 v3, s25
	s_sub_u32 s0, 0, s24
	s_subb_u32 s1, 0, s25
	v_mac_f32_e32 v2, 0x4f800000, v3
	v_rcp_f32_e32 v2, v2
	v_mul_f32_e32 v2, 0x5f7ffffc, v2
	v_mul_f32_e32 v3, 0x2f800000, v2
	v_trunc_f32_e32 v3, v3
	v_mac_f32_e32 v2, 0xcf800000, v3
	v_cvt_u32_f32_e32 v3, v3
	v_cvt_u32_f32_e32 v2, v2
	v_mul_lo_u32 v8, s0, v3
	v_mul_hi_u32 v9, s0, v2
	v_mul_lo_u32 v11, s1, v2
	v_mul_lo_u32 v10, s0, v2
	v_add_u32_e32 v8, v9, v8
	v_add_u32_e32 v8, v8, v11
	v_mul_hi_u32 v9, v2, v10
	v_mul_lo_u32 v11, v2, v8
	v_mul_hi_u32 v13, v2, v8
	v_mul_hi_u32 v12, v3, v10
	v_mul_lo_u32 v10, v3, v10
	v_mul_hi_u32 v14, v3, v8
	v_add_co_u32_e32 v9, vcc, v9, v11
	v_addc_co_u32_e32 v11, vcc, 0, v13, vcc
	v_mul_lo_u32 v8, v3, v8
	v_add_co_u32_e32 v9, vcc, v9, v10
	v_addc_co_u32_e32 v9, vcc, v11, v12, vcc
	v_addc_co_u32_e32 v10, vcc, 0, v14, vcc
	v_add_co_u32_e32 v8, vcc, v9, v8
	v_addc_co_u32_e32 v9, vcc, 0, v10, vcc
	v_add_co_u32_e32 v2, vcc, v2, v8
	v_addc_co_u32_e32 v3, vcc, v3, v9, vcc
	v_mul_lo_u32 v8, s0, v3
	v_mul_hi_u32 v9, s0, v2
	v_mul_lo_u32 v10, s1, v2
	v_mul_lo_u32 v11, s0, v2
	v_add_u32_e32 v8, v9, v8
	v_add_u32_e32 v8, v8, v10
	v_mul_lo_u32 v12, v2, v8
	v_mul_hi_u32 v13, v2, v11
	v_mul_hi_u32 v14, v2, v8
	v_mul_hi_u32 v10, v3, v11
	v_mul_lo_u32 v11, v3, v11
	v_mul_hi_u32 v9, v3, v8
	v_add_co_u32_e32 v12, vcc, v13, v12
	v_addc_co_u32_e32 v13, vcc, 0, v14, vcc
	v_mul_lo_u32 v8, v3, v8
	v_add_co_u32_e32 v11, vcc, v12, v11
	v_addc_co_u32_e32 v10, vcc, v13, v10, vcc
	v_addc_co_u32_e32 v9, vcc, 0, v9, vcc
	v_add_co_u32_e32 v8, vcc, v10, v8
	v_addc_co_u32_e32 v9, vcc, 0, v9, vcc
	v_add_co_u32_e32 v8, vcc, v2, v8
	v_addc_co_u32_e32 v9, vcc, v3, v9, vcc
	v_mad_u64_u32 v[2:3], s[0:1], v6, v9, 0
	v_mul_hi_u32 v10, v6, v8
	v_add_co_u32_e32 v10, vcc, v10, v2
	v_addc_co_u32_e32 v11, vcc, 0, v3, vcc
	v_mad_u64_u32 v[2:3], s[0:1], v7, v8, 0
	v_mad_u64_u32 v[8:9], s[0:1], v7, v9, 0
	v_add_co_u32_e32 v2, vcc, v10, v2
	v_addc_co_u32_e32 v2, vcc, v11, v3, vcc
	v_addc_co_u32_e32 v3, vcc, 0, v9, vcc
	v_add_co_u32_e32 v8, vcc, v2, v8
	v_addc_co_u32_e32 v9, vcc, 0, v3, vcc
	v_mul_lo_u32 v10, s25, v8
	v_mul_lo_u32 v11, s24, v9
	v_mad_u64_u32 v[2:3], s[0:1], s24, v8, 0
	v_add3_u32 v3, v3, v11, v10
	v_sub_u32_e32 v10, v7, v3
	v_mov_b32_e32 v11, s25
	v_sub_co_u32_e32 v2, vcc, v6, v2
	v_subb_co_u32_e64 v10, s[0:1], v10, v11, vcc
	v_subrev_co_u32_e64 v11, s[0:1], s24, v2
	v_subbrev_co_u32_e64 v10, s[0:1], 0, v10, s[0:1]
	v_cmp_le_u32_e64 s[0:1], s25, v10
	v_cndmask_b32_e64 v12, 0, -1, s[0:1]
	v_cmp_le_u32_e64 s[0:1], s24, v11
	v_cndmask_b32_e64 v11, 0, -1, s[0:1]
	v_cmp_eq_u32_e64 s[0:1], s25, v10
	v_cndmask_b32_e64 v10, v12, v11, s[0:1]
	v_add_co_u32_e64 v11, s[0:1], 2, v8
	v_addc_co_u32_e64 v12, s[0:1], 0, v9, s[0:1]
	v_add_co_u32_e64 v13, s[0:1], 1, v8
	v_addc_co_u32_e64 v14, s[0:1], 0, v9, s[0:1]
	v_subb_co_u32_e32 v3, vcc, v7, v3, vcc
	v_cmp_ne_u32_e64 s[0:1], 0, v10
	v_cmp_le_u32_e32 vcc, s25, v3
	v_cndmask_b32_e64 v10, v14, v12, s[0:1]
	v_cndmask_b32_e64 v12, 0, -1, vcc
	v_cmp_le_u32_e32 vcc, s24, v2
	v_cndmask_b32_e64 v2, 0, -1, vcc
	v_cmp_eq_u32_e32 vcc, s25, v3
	v_cndmask_b32_e32 v2, v12, v2, vcc
	v_cmp_ne_u32_e32 vcc, 0, v2
	v_cndmask_b32_e64 v2, v13, v11, s[0:1]
	v_cndmask_b32_e32 v71, v9, v10, vcc
	v_cndmask_b32_e32 v70, v8, v2, vcc
.LBB0_4:                                ;   in Loop: Header=BB0_2 Depth=1
	s_andn2_saveexec_b64 s[0:1], s[26:27]
	s_cbranch_execz .LBB0_6
; %bb.5:                                ;   in Loop: Header=BB0_2 Depth=1
	v_cvt_f32_u32_e32 v2, s24
	s_sub_i32 s26, 0, s24
	v_mov_b32_e32 v71, v1
	v_rcp_iflag_f32_e32 v2, v2
	v_mul_f32_e32 v2, 0x4f7ffffe, v2
	v_cvt_u32_f32_e32 v2, v2
	v_mul_lo_u32 v3, s26, v2
	v_mul_hi_u32 v3, v2, v3
	v_add_u32_e32 v2, v2, v3
	v_mul_hi_u32 v2, v6, v2
	v_mul_lo_u32 v3, v2, s24
	v_add_u32_e32 v8, 1, v2
	v_sub_u32_e32 v3, v6, v3
	v_subrev_u32_e32 v9, s24, v3
	v_cmp_le_u32_e32 vcc, s24, v3
	v_cndmask_b32_e32 v3, v3, v9, vcc
	v_cndmask_b32_e32 v2, v2, v8, vcc
	v_add_u32_e32 v8, 1, v2
	v_cmp_le_u32_e32 vcc, s24, v3
	v_cndmask_b32_e32 v70, v2, v8, vcc
.LBB0_6:                                ;   in Loop: Header=BB0_2 Depth=1
	s_or_b64 exec, exec, s[0:1]
	v_mul_lo_u32 v8, v71, s24
	v_mul_lo_u32 v9, v70, s25
	v_mad_u64_u32 v[2:3], s[0:1], v70, s24, 0
	s_load_dwordx2 s[0:1], s[6:7], 0x0
	s_load_dwordx2 s[24:25], s[2:3], 0x0
	v_add3_u32 v3, v3, v9, v8
	v_sub_co_u32_e32 v2, vcc, v6, v2
	v_subb_co_u32_e32 v3, vcc, v7, v3, vcc
	s_waitcnt lgkmcnt(0)
	v_mul_lo_u32 v6, s0, v3
	v_mul_lo_u32 v7, s1, v2
	v_mad_u64_u32 v[4:5], s[0:1], s0, v2, v[4:5]
	v_mul_lo_u32 v3, s24, v3
	v_mul_lo_u32 v8, s25, v2
	v_mad_u64_u32 v[68:69], s[0:1], s24, v2, v[68:69]
	s_add_u32 s22, s22, 1
	s_addc_u32 s23, s23, 0
	s_add_u32 s2, s2, 8
	v_add3_u32 v69, v8, v69, v3
	s_addc_u32 s3, s3, 0
	v_mov_b32_e32 v2, s10
	s_add_u32 s6, s6, 8
	v_mov_b32_e32 v3, s11
	s_addc_u32 s7, s7, 0
	v_cmp_ge_u64_e32 vcc, s[22:23], v[2:3]
	s_add_u32 s20, s20, 8
	v_add3_u32 v5, v7, v5, v6
	s_addc_u32 s21, s21, 0
	s_cbranch_vccnz .LBB0_9
; %bb.7:                                ;   in Loop: Header=BB0_2 Depth=1
	v_mov_b32_e32 v6, v70
	v_mov_b32_e32 v7, v71
	s_branch .LBB0_2
.LBB0_8:
	v_mov_b32_e32 v69, v5
	v_mov_b32_e32 v71, v7
	;; [unrolled: 1-line block ×4, first 2 shown]
.LBB0_9:
	s_load_dwordx2 s[4:5], s[4:5], 0x28
	s_lshl_b64 s[6:7], s[10:11], 3
	s_add_u32 s2, s18, s6
	s_addc_u32 s3, s19, s7
                                        ; implicit-def: $vgpr106
	s_waitcnt lgkmcnt(0)
	v_cmp_gt_u64_e64 s[0:1], s[4:5], v[70:71]
	v_cmp_le_u64_e32 vcc, s[4:5], v[70:71]
	s_and_saveexec_b64 s[4:5], vcc
	s_xor_b64 s[4:5], exec, s[4:5]
; %bb.10:
	s_mov_b32 s10, 0x2828283
	v_mul_hi_u32 v1, v0, s10
                                        ; implicit-def: $vgpr4_vgpr5
	v_mul_u32_u24_e32 v1, 0x66, v1
	v_sub_u32_e32 v106, v0, v1
                                        ; implicit-def: $vgpr0
; %bb.11:
	s_or_saveexec_b64 s[4:5], s[4:5]
                                        ; implicit-def: $vgpr18_vgpr19
                                        ; implicit-def: $vgpr22_vgpr23
                                        ; implicit-def: $vgpr26_vgpr27
                                        ; implicit-def: $vgpr38_vgpr39
                                        ; implicit-def: $vgpr42_vgpr43
                                        ; implicit-def: $vgpr46_vgpr47
                                        ; implicit-def: $vgpr50_vgpr51
                                        ; implicit-def: $vgpr54_vgpr55
                                        ; implicit-def: $vgpr58_vgpr59
                                        ; implicit-def: $vgpr62_vgpr63
                                        ; implicit-def: $vgpr66_vgpr67
                                        ; implicit-def: $vgpr14_vgpr15
                                        ; implicit-def: $vgpr34_vgpr35
                                        ; implicit-def: $vgpr30_vgpr31
                                        ; implicit-def: $vgpr10_vgpr11
                                        ; implicit-def: $vgpr6_vgpr7
                                        ; implicit-def: $vgpr2_vgpr3
	s_xor_b64 exec, exec, s[4:5]
	s_cbranch_execz .LBB0_13
; %bb.12:
	s_add_u32 s6, s16, s6
	s_addc_u32 s7, s17, s7
	s_load_dwordx2 s[6:7], s[6:7], 0x0
	s_mov_b32 s10, 0x2828283
	v_mul_hi_u32 v3, v0, s10
	s_waitcnt lgkmcnt(0)
	v_mul_lo_u32 v6, s7, v70
	v_mul_lo_u32 v7, s6, v71
	v_mad_u64_u32 v[1:2], s[6:7], s6, v70, 0
	v_mul_u32_u24_e32 v3, 0x66, v3
	v_sub_u32_e32 v106, v0, v3
	v_add3_u32 v2, v2, v7, v6
	v_lshlrev_b64 v[0:1], 4, v[1:2]
	v_mov_b32_e32 v2, s13
	v_add_co_u32_e32 v3, vcc, s12, v0
	v_addc_co_u32_e32 v2, vcc, v2, v1, vcc
	v_lshlrev_b64 v[0:1], 4, v[4:5]
	s_movk_i32 s6, 0x1000
	v_add_co_u32_e32 v0, vcc, v3, v0
	v_addc_co_u32_e32 v1, vcc, v2, v1, vcc
	v_lshlrev_b32_e32 v2, 4, v106
	v_add_co_u32_e32 v16, vcc, v0, v2
	v_addc_co_u32_e32 v17, vcc, 0, v1, vcc
	v_add_co_u32_e32 v18, vcc, s6, v16
	v_addc_co_u32_e32 v19, vcc, 0, v17, vcc
	s_movk_i32 s6, 0x2000
	v_add_co_u32_e32 v72, vcc, s6, v16
	v_addc_co_u32_e32 v73, vcc, 0, v17, vcc
	s_movk_i32 s6, 0x3000
	;; [unrolled: 3-line block ×4, first 2 shown]
	v_add_co_u32_e32 v78, vcc, s6, v16
	v_addc_co_u32_e32 v79, vcc, 0, v17, vcc
	v_add_co_u32_e32 v80, vcc, 0x6000, v16
	global_load_dwordx4 v[0:3], v[16:17], off
	global_load_dwordx4 v[4:7], v[16:17], off offset:1632
	global_load_dwordx4 v[8:11], v[16:17], off offset:3264
	;; [unrolled: 1-line block ×5, first 2 shown]
	v_addc_co_u32_e32 v81, vcc, 0, v17, vcc
	global_load_dwordx4 v[64:67], v[72:73], off offset:1600
	global_load_dwordx4 v[60:63], v[72:73], off offset:3232
	;; [unrolled: 1-line block ×11, first 2 shown]
.LBB0_13:
	s_or_b64 exec, exec, s[4:5]
	s_waitcnt vmcnt(15)
	v_add_f64 v[72:73], v[4:5], v[0:1]
	v_add_f64 v[74:75], v[6:7], v[2:3]
	s_waitcnt vmcnt(5)
	v_add_f64 v[80:81], v[44:45], v[64:65]
	v_add_f64 v[82:83], v[46:47], v[66:67]
	v_add_f64 v[84:85], v[64:65], -v[44:45]
	v_add_f64 v[86:87], v[66:67], -v[46:47]
	;; [unrolled: 1-line block ×3, first 2 shown]
	s_waitcnt vmcnt(0)
	v_add_f64 v[117:118], v[4:5], -v[16:17]
	v_add_f64 v[72:73], v[8:9], v[72:73]
	v_add_f64 v[74:75], v[10:11], v[74:75]
	;; [unrolled: 1-line block ×3, first 2 shown]
	v_add_f64 v[92:93], v[12:13], -v[40:41]
	v_add_f64 v[98:99], v[36:37], v[32:33]
	v_add_f64 v[100:101], v[32:33], -v[36:37]
	v_add_f64 v[111:112], v[30:31], -v[26:27]
	s_mov_b32 s24, 0x5d8e7cdc
	v_add_f64 v[104:105], v[28:29], v[72:73]
	v_add_f64 v[107:108], v[30:31], v[74:75]
	;; [unrolled: 1-line block ×3, first 2 shown]
	s_mov_b32 s22, 0x2a9d6da3
	s_mov_b32 s6, 0x7c9e640b
	;; [unrolled: 1-line block ×5, first 2 shown]
	v_add_f64 v[104:105], v[32:33], v[104:105]
	v_add_f64 v[107:108], v[34:35], v[107:108]
	;; [unrolled: 1-line block ×4, first 2 shown]
	s_mov_b32 s30, 0x4363dd80
	s_mov_b32 s38, 0xacd6c6b4
	;; [unrolled: 1-line block ×4, first 2 shown]
	v_add_f64 v[104:105], v[12:13], v[104:105]
	v_add_f64 v[107:108], v[14:15], v[107:108]
	v_add_f64 v[12:13], v[56:57], -v[52:53]
	s_mov_b32 s7, 0xbfeca52d
	s_mov_b32 s5, 0xbfefdd0d
	;; [unrolled: 1-line block ×5, first 2 shown]
	v_add_f64 v[64:65], v[64:65], v[104:105]
	v_add_f64 v[66:67], v[66:67], v[107:108]
	;; [unrolled: 1-line block ×4, first 2 shown]
	v_add_f64 v[4:5], v[6:7], -v[18:19]
	s_mov_b32 s39, 0xbfc7851a
	v_add_f64 v[88:89], v[42:43], v[14:15]
	v_add_f64 v[94:95], v[14:15], -v[42:43]
	v_add_f64 v[6:7], v[60:61], v[64:65]
	v_add_f64 v[60:61], v[62:63], v[66:67]
	;; [unrolled: 1-line block ×3, first 2 shown]
	v_add_f64 v[102:103], v[34:35], -v[38:39]
	v_add_f64 v[74:75], v[50:51], v[62:63]
	v_add_f64 v[78:79], v[62:63], -v[50:51]
	v_add_f64 v[34:35], v[24:25], v[28:29]
	;; [unrolled: 2-line block ×3, first 2 shown]
	v_add_f64 v[56:57], v[58:59], v[60:61]
	v_add_f64 v[28:29], v[54:55], v[58:59]
	v_add_f64 v[14:15], v[58:59], -v[54:55]
	s_mov_b32 s34, 0x370991
	s_mov_b32 s26, 0x75d4884
	;; [unrolled: 1-line block ×4, first 2 shown]
	v_add_f64 v[6:7], v[52:53], v[6:7]
	v_add_f64 v[52:53], v[54:55], v[56:57]
	v_mul_f64 v[54:55], v[4:5], s[30:31]
	s_mov_b32 s20, 0xc61f0d01
	s_mov_b32 s28, 0x6ed5f1bb
	;; [unrolled: 1-line block ×5, first 2 shown]
	v_add_f64 v[6:7], v[48:49], v[6:7]
	v_add_f64 v[48:49], v[50:51], v[52:53]
	v_mul_f64 v[50:51], v[4:5], s[10:11]
	v_mul_f64 v[52:53], v[4:5], s[16:17]
	s_mov_b32 s27, 0x3fe7a5f6
	s_mov_b32 s19, 0x3fdc86fa
	;; [unrolled: 1-line block ×4, first 2 shown]
	v_add_f64 v[6:7], v[44:45], v[6:7]
	v_add_f64 v[44:45], v[46:47], v[48:49]
	v_mul_f64 v[46:47], v[4:5], s[24:25]
	v_mul_f64 v[48:49], v[4:5], s[4:5]
	s_mov_b32 s29, 0xbfe348c8
	s_mov_b32 s37, 0xbfeb34fa
	;; [unrolled: 1-line block ×3, first 2 shown]
	v_add_f64 v[113:114], v[20:21], v[8:9]
	v_add_f64 v[6:7], v[40:41], v[6:7]
	v_add_f64 v[40:41], v[42:43], v[44:45]
	v_mul_f64 v[42:43], v[4:5], s[22:23]
	v_mul_f64 v[44:45], v[4:5], s[6:7]
	v_add_f64 v[115:116], v[22:23], v[10:11]
	v_add_f64 v[8:9], v[8:9], -v[20:21]
	v_add_f64 v[10:11], v[10:11], -v[22:23]
	v_mul_f64 v[58:59], v[117:118], s[6:7]
	v_add_f64 v[6:7], v[36:37], v[6:7]
	v_add_f64 v[36:37], v[38:39], v[40:41]
	v_mul_f64 v[38:39], v[4:5], s[38:39]
	v_fma_f64 v[60:61], v[104:105], s[34:35], v[46:47]
	v_fma_f64 v[46:47], v[104:105], s[34:35], -v[46:47]
	v_fma_f64 v[62:63], v[104:105], s[36:37], v[54:55]
	v_fma_f64 v[54:55], v[104:105], s[36:37], -v[54:55]
	v_mul_f64 v[66:67], v[117:118], s[4:5]
	v_add_f64 v[4:5], v[24:25], v[6:7]
	v_add_f64 v[6:7], v[26:27], v[36:37]
	v_fma_f64 v[24:25], v[104:105], s[26:27], v[42:43]
	v_fma_f64 v[26:27], v[104:105], s[26:27], -v[42:43]
	v_fma_f64 v[36:37], v[104:105], s[18:19], v[44:45]
	v_fma_f64 v[42:43], v[104:105], s[18:19], -v[44:45]
	;; [unrolled: 2-line block ×3, first 2 shown]
	v_add_f64 v[4:5], v[20:21], v[4:5]
	v_add_f64 v[6:7], v[22:23], v[6:7]
	v_fma_f64 v[20:21], v[104:105], s[20:21], v[50:51]
	v_fma_f64 v[22:23], v[104:105], s[20:21], -v[50:51]
	v_fma_f64 v[50:51], v[104:105], s[28:29], v[52:53]
	v_fma_f64 v[52:53], v[104:105], s[28:29], -v[52:53]
	v_mul_f64 v[121:122], v[117:118], s[16:17]
	v_mul_f64 v[40:41], v[117:118], s[24:25]
	v_add_f64 v[4:5], v[16:17], v[4:5]
	v_add_f64 v[16:17], v[18:19], v[6:7]
	v_fma_f64 v[6:7], v[104:105], s[40:41], v[38:39]
	v_fma_f64 v[18:19], v[104:105], s[40:41], -v[38:39]
	v_mul_f64 v[104:105], v[117:118], s[10:11]
	v_mul_f64 v[56:57], v[117:118], s[22:23]
	v_fma_f64 v[119:120], v[107:108], s[18:19], -v[58:59]
	v_mul_f64 v[123:124], v[117:118], s[30:31]
	v_mul_f64 v[117:118], v[117:118], s[38:39]
	v_fma_f64 v[125:126], v[107:108], s[12:13], -v[66:67]
	v_fma_f64 v[129:130], v[107:108], s[28:29], -v[121:122]
	;; [unrolled: 1-line block ×4, first 2 shown]
	v_fma_f64 v[40:41], v[107:108], s[34:35], v[40:41]
	v_fma_f64 v[64:65], v[107:108], s[26:27], -v[56:57]
	v_fma_f64 v[56:57], v[107:108], s[26:27], v[56:57]
	v_fma_f64 v[58:59], v[107:108], s[18:19], v[58:59]
	;; [unrolled: 1-line block ×5, first 2 shown]
	v_fma_f64 v[131:132], v[107:108], s[36:37], -v[123:124]
	v_fma_f64 v[123:124], v[107:108], s[36:37], v[123:124]
	v_fma_f64 v[133:134], v[107:108], s[40:41], -v[117:118]
	v_fma_f64 v[107:108], v[107:108], s[40:41], v[117:118]
	v_add_f64 v[117:118], v[2:3], v[119:120]
	v_add_f64 v[119:120], v[2:3], v[125:126]
	;; [unrolled: 1-line block ×4, first 2 shown]
	v_mul_f64 v[129:130], v[10:11], s[22:23]
	v_add_f64 v[60:61], v[0:1], v[60:61]
	v_mul_f64 v[135:136], v[8:9], s[22:23]
	v_mul_f64 v[137:138], v[10:11], s[4:5]
	;; [unrolled: 1-line block ×3, first 2 shown]
	v_add_f64 v[38:39], v[2:3], v[38:39]
	v_add_f64 v[46:47], v[0:1], v[46:47]
	;; [unrolled: 1-line block ×3, first 2 shown]
	v_fma_f64 v[139:140], v[113:114], s[26:27], v[129:130]
	v_add_f64 v[24:25], v[0:1], v[24:25]
	v_add_f64 v[64:65], v[2:3], v[64:65]
	;; [unrolled: 1-line block ×22, first 2 shown]
	v_fma_f64 v[143:144], v[115:116], s[26:27], -v[135:136]
	v_fma_f64 v[129:130], v[113:114], s[26:27], -v[129:130]
	v_add_f64 v[0:1], v[0:1], v[18:19]
	v_add_f64 v[2:3], v[2:3], v[107:108]
	v_fma_f64 v[18:19], v[115:116], s[26:27], v[135:136]
	v_fma_f64 v[107:108], v[113:114], s[12:13], v[137:138]
	v_add_f64 v[60:61], v[139:140], v[60:61]
	v_fma_f64 v[135:136], v[115:116], s[12:13], -v[141:142]
	v_mul_f64 v[139:140], v[8:9], s[16:17]
	v_add_f64 v[46:47], v[129:130], v[46:47]
	v_mul_f64 v[129:130], v[10:11], s[16:17]
	v_mul_f64 v[145:146], v[8:9], s[38:39]
	s_mov_b32 s45, 0x3fe0d888
	v_add_f64 v[24:25], v[107:108], v[24:25]
	v_fma_f64 v[107:108], v[113:114], s[12:13], -v[137:138]
	v_add_f64 v[64:65], v[135:136], v[64:65]
	v_fma_f64 v[135:136], v[115:116], s[12:13], v[141:142]
	v_fma_f64 v[141:142], v[115:116], s[28:29], -v[139:140]
	s_mov_b32 s44, s30
	v_add_f64 v[18:19], v[18:19], v[40:41]
	v_mul_f64 v[40:41], v[10:11], s[38:39]
	v_fma_f64 v[137:138], v[113:114], s[28:29], v[129:130]
	v_fma_f64 v[129:130], v[113:114], s[28:29], -v[129:130]
	v_add_f64 v[26:27], v[107:108], v[26:27]
	v_add_f64 v[56:57], v[135:136], v[56:57]
	;; [unrolled: 1-line block ×3, first 2 shown]
	v_fma_f64 v[117:118], v[115:116], s[40:41], -v[145:146]
	v_mul_f64 v[135:136], v[8:9], s[44:45]
	s_mov_b32 s43, 0x3feec746
	s_mov_b32 s42, s10
	v_add_f64 v[38:39], v[143:144], v[38:39]
	v_fma_f64 v[139:140], v[115:116], s[28:29], v[139:140]
	v_fma_f64 v[143:144], v[113:114], s[40:41], v[40:41]
	v_add_f64 v[36:37], v[137:138], v[36:37]
	v_add_f64 v[42:43], v[129:130], v[42:43]
	v_mul_f64 v[129:130], v[10:11], s[44:45]
	v_mul_f64 v[137:138], v[10:11], s[42:43]
	v_add_f64 v[117:118], v[117:118], v[119:120]
	v_fma_f64 v[40:41], v[113:114], s[40:41], -v[40:41]
	v_fma_f64 v[119:120], v[115:116], s[40:41], v[145:146]
	v_fma_f64 v[141:142], v[115:116], s[36:37], -v[135:136]
	v_fma_f64 v[135:136], v[115:116], s[36:37], v[135:136]
	s_mov_b32 s47, 0x3feca52d
	s_mov_b32 s46, s6
	v_add_f64 v[58:59], v[139:140], v[58:59]
	v_fma_f64 v[139:140], v[113:114], s[36:37], v[129:130]
	v_fma_f64 v[129:130], v[113:114], s[36:37], -v[129:130]
	v_mul_f64 v[145:146], v[8:9], s[42:43]
	v_add_f64 v[40:41], v[40:41], v[48:49]
	v_add_f64 v[48:49], v[119:120], v[66:67]
	;; [unrolled: 1-line block ×4, first 2 shown]
	v_fma_f64 v[125:126], v[113:114], s[20:21], -v[137:138]
	v_mul_f64 v[135:136], v[10:11], s[46:47]
	s_mov_b32 s49, 0x3fd71e95
	s_mov_b32 s48, s24
	v_add_f64 v[44:45], v[143:144], v[44:45]
	v_fma_f64 v[143:144], v[113:114], s[20:21], v[137:138]
	v_add_f64 v[20:21], v[139:140], v[20:21]
	v_add_f64 v[22:23], v[129:130], v[22:23]
	v_fma_f64 v[119:120], v[115:116], s[20:21], -v[145:146]
	v_fma_f64 v[129:130], v[115:116], s[20:21], v[145:146]
	v_mul_f64 v[10:11], v[10:11], s[48:49]
	v_mul_f64 v[137:138], v[8:9], s[46:47]
	v_add_f64 v[52:53], v[125:126], v[52:53]
	v_fma_f64 v[125:126], v[113:114], s[18:19], v[135:136]
	v_mul_f64 v[8:9], v[8:9], s[48:49]
	v_mul_f64 v[139:140], v[111:112], s[6:7]
	v_add_f64 v[119:120], v[119:120], v[127:128]
	v_add_f64 v[121:122], v[129:130], v[121:122]
	v_fma_f64 v[127:128], v[113:114], s[18:19], -v[135:136]
	v_fma_f64 v[129:130], v[113:114], s[34:35], v[10:11]
	v_fma_f64 v[10:11], v[113:114], s[34:35], -v[10:11]
	v_mul_f64 v[113:114], v[109:110], s[6:7]
	v_fma_f64 v[141:142], v[115:116], s[34:35], -v[8:9]
	v_fma_f64 v[8:9], v[115:116], s[34:35], v[8:9]
	v_add_f64 v[62:63], v[125:126], v[62:63]
	v_fma_f64 v[125:126], v[34:35], s[18:19], v[139:140]
	s_mov_b32 s51, 0x3fc7851a
	s_mov_b32 s50, s38
	v_fma_f64 v[135:136], v[115:116], s[18:19], -v[137:138]
	v_add_f64 v[54:55], v[127:128], v[54:55]
	v_fma_f64 v[127:128], v[32:33], s[18:19], -v[113:114]
	v_add_f64 v[6:7], v[129:130], v[6:7]
	v_add_f64 v[129:130], v[141:142], v[133:134]
	;; [unrolled: 1-line block ×5, first 2 shown]
	v_mul_f64 v[10:11], v[111:112], s[16:17]
	v_mul_f64 v[60:61], v[109:110], s[16:17]
	v_fma_f64 v[125:126], v[34:35], s[18:19], -v[139:140]
	v_mul_f64 v[133:134], v[109:110], s[50:51]
	v_fma_f64 v[137:138], v[115:116], s[18:19], v[137:138]
	v_add_f64 v[115:116], v[135:136], v[131:132]
	v_add_f64 v[38:39], v[127:128], v[38:39]
	v_fma_f64 v[113:114], v[32:33], s[18:19], v[113:114]
	v_mul_f64 v[127:128], v[111:112], s[50:51]
	v_fma_f64 v[131:132], v[34:35], s[28:29], v[10:11]
	v_fma_f64 v[135:136], v[32:33], s[28:29], -v[60:61]
	v_add_f64 v[46:47], v[125:126], v[46:47]
	v_fma_f64 v[10:11], v[34:35], s[28:29], -v[10:11]
	v_fma_f64 v[60:61], v[32:33], s[28:29], v[60:61]
	v_fma_f64 v[125:126], v[32:33], s[40:41], -v[133:134]
	v_add_f64 v[18:19], v[113:114], v[18:19]
	v_fma_f64 v[113:114], v[34:35], s[40:41], v[127:128]
	v_add_f64 v[24:25], v[131:132], v[24:25]
	v_add_f64 v[64:65], v[135:136], v[64:65]
	v_mul_f64 v[131:132], v[111:112], s[42:43]
	v_mul_f64 v[135:136], v[109:110], s[42:43]
	v_add_f64 v[10:11], v[10:11], v[26:27]
	v_add_f64 v[26:27], v[60:61], v[56:57]
	v_fma_f64 v[56:57], v[34:35], s[40:41], -v[127:128]
	v_add_f64 v[60:61], v[125:126], v[107:108]
	v_fma_f64 v[107:108], v[32:33], s[40:41], v[133:134]
	s_mov_b32 s53, 0x3fe58eea
	s_mov_b32 s52, s22
	v_add_f64 v[36:37], v[113:114], v[36:37]
	v_fma_f64 v[113:114], v[34:35], s[20:21], v[131:132]
	v_fma_f64 v[125:126], v[32:33], s[20:21], -v[135:136]
	v_mul_f64 v[127:128], v[111:112], s[52:53]
	v_add_f64 v[42:43], v[56:57], v[42:43]
	v_mul_f64 v[56:57], v[109:110], s[52:53]
	v_add_f64 v[58:59], v[107:108], v[58:59]
	v_fma_f64 v[107:108], v[34:35], s[20:21], -v[131:132]
	v_mul_f64 v[131:132], v[111:112], s[24:25]
	v_add_f64 v[50:51], v[143:144], v[50:51]
	v_add_f64 v[44:45], v[113:114], v[44:45]
	;; [unrolled: 1-line block ×3, first 2 shown]
	v_fma_f64 v[117:118], v[32:33], s[20:21], v[135:136]
	v_fma_f64 v[125:126], v[34:35], s[26:27], v[127:128]
	v_fma_f64 v[133:134], v[32:33], s[26:27], -v[56:57]
	v_fma_f64 v[127:128], v[34:35], s[26:27], -v[127:128]
	v_mul_f64 v[135:136], v[109:110], s[24:25]
	v_add_f64 v[40:41], v[107:108], v[40:41]
	v_fma_f64 v[56:57], v[32:33], s[26:27], v[56:57]
	v_fma_f64 v[107:108], v[34:35], s[34:35], v[131:132]
	v_add_f64 v[48:49], v[117:118], v[48:49]
	v_add_f64 v[20:21], v[125:126], v[20:21]
	v_fma_f64 v[125:126], v[34:35], s[34:35], -v[131:132]
	v_add_f64 v[22:23], v[127:128], v[22:23]
	v_fma_f64 v[117:118], v[32:33], s[34:35], -v[135:136]
	v_mul_f64 v[127:128], v[111:112], s[4:5]
	v_add_f64 v[56:57], v[56:57], v[104:105]
	v_fma_f64 v[104:105], v[32:33], s[34:35], v[135:136]
	v_add_f64 v[50:51], v[107:108], v[50:51]
	v_mul_f64 v[107:108], v[111:112], s[30:31]
	v_mul_f64 v[111:112], v[109:110], s[4:5]
	;; [unrolled: 1-line block ×3, first 2 shown]
	v_add_f64 v[123:124], v[137:138], v[123:124]
	v_add_f64 v[117:118], v[117:118], v[119:120]
	v_add_f64 v[52:53], v[125:126], v[52:53]
	v_add_f64 v[104:105], v[104:105], v[121:122]
	v_fma_f64 v[119:120], v[34:35], s[12:13], v[127:128]
	v_fma_f64 v[121:122], v[34:35], s[12:13], -v[127:128]
	v_fma_f64 v[125:126], v[34:35], s[36:37], v[107:108]
	v_fma_f64 v[127:128], v[32:33], s[12:13], -v[111:112]
	v_fma_f64 v[34:35], v[34:35], s[36:37], -v[107:108]
	v_fma_f64 v[107:108], v[32:33], s[12:13], v[111:112]
	v_fma_f64 v[111:112], v[32:33], s[36:37], -v[109:110]
	v_fma_f64 v[32:33], v[32:33], s[36:37], v[109:110]
	v_mul_f64 v[109:110], v[102:103], s[4:5]
	v_mul_f64 v[131:132], v[100:101], s[4:5]
	v_add_f64 v[62:63], v[119:120], v[62:63]
	v_add_f64 v[54:55], v[121:122], v[54:55]
	;; [unrolled: 1-line block ×4, first 2 shown]
	v_mul_f64 v[123:124], v[102:103], s[38:39]
	v_mul_f64 v[125:126], v[100:101], s[38:39]
	v_fma_f64 v[119:120], v[98:99], s[12:13], v[109:110]
	v_fma_f64 v[121:122], v[96:97], s[12:13], -v[131:132]
	v_fma_f64 v[109:110], v[98:99], s[12:13], -v[109:110]
	v_add_f64 v[0:1], v[34:35], v[0:1]
	v_fma_f64 v[34:35], v[96:97], s[12:13], v[131:132]
	v_add_f64 v[2:3], v[32:33], v[2:3]
	v_add_f64 v[115:116], v[127:128], v[115:116]
	;; [unrolled: 1-line block ×5, first 2 shown]
	v_fma_f64 v[38:39], v[98:99], s[40:41], v[123:124]
	v_fma_f64 v[119:120], v[96:97], s[40:41], -v[125:126]
	v_add_f64 v[46:47], v[109:110], v[46:47]
	v_mul_f64 v[109:110], v[102:103], s[42:43]
	v_add_f64 v[18:19], v[34:35], v[18:19]
	v_mul_f64 v[34:35], v[100:101], s[42:43]
	v_fma_f64 v[121:122], v[98:99], s[40:41], -v[123:124]
	v_fma_f64 v[123:124], v[96:97], s[40:41], v[125:126]
	v_add_f64 v[24:25], v[38:39], v[24:25]
	v_add_f64 v[38:39], v[119:120], v[64:65]
	v_mul_f64 v[64:65], v[102:103], s[48:49]
	v_fma_f64 v[119:120], v[98:99], s[20:21], v[109:110]
	v_mul_f64 v[125:126], v[100:101], s[48:49]
	v_fma_f64 v[127:128], v[96:97], s[20:21], -v[34:35]
	v_add_f64 v[10:11], v[121:122], v[10:11]
	v_add_f64 v[26:27], v[123:124], v[26:27]
	v_fma_f64 v[34:35], v[96:97], s[20:21], v[34:35]
	v_mul_f64 v[123:124], v[102:103], s[6:7]
	v_fma_f64 v[121:122], v[98:99], s[34:35], v[64:65]
	v_add_f64 v[36:37], v[119:120], v[36:37]
	v_fma_f64 v[119:120], v[96:97], s[34:35], -v[125:126]
	v_add_f64 v[60:61], v[127:128], v[60:61]
	v_mul_f64 v[127:128], v[100:101], s[6:7]
	v_fma_f64 v[109:110], v[98:99], s[20:21], -v[109:110]
	v_add_f64 v[34:35], v[34:35], v[58:59]
	v_fma_f64 v[58:59], v[98:99], s[34:35], -v[64:65]
	v_add_f64 v[44:45], v[121:122], v[44:45]
	;; [unrolled: 2-line block ×3, first 2 shown]
	v_fma_f64 v[113:114], v[98:99], s[18:19], v[123:124]
	v_fma_f64 v[119:120], v[96:97], s[18:19], -v[127:128]
	v_mul_f64 v[123:124], v[102:103], s[30:31]
	v_add_f64 v[42:43], v[109:110], v[42:43]
	v_fma_f64 v[109:110], v[96:97], s[34:35], v[125:126]
	v_fma_f64 v[125:126], v[96:97], s[18:19], v[127:128]
	v_mul_f64 v[127:128], v[100:101], s[30:31]
	v_add_f64 v[40:41], v[58:59], v[40:41]
	s_mov_b32 s55, 0x3fe9895b
	v_add_f64 v[58:59], v[119:120], v[66:67]
	v_fma_f64 v[66:67], v[98:99], s[36:37], v[123:124]
	s_mov_b32 s54, s16
	v_add_f64 v[48:49], v[109:110], v[48:49]
	v_add_f64 v[20:21], v[113:114], v[20:21]
	v_add_f64 v[22:23], v[121:122], v[22:23]
	v_fma_f64 v[109:110], v[96:97], s[36:37], -v[127:128]
	v_fma_f64 v[113:114], v[98:99], s[36:37], -v[123:124]
	v_fma_f64 v[119:120], v[96:97], s[36:37], v[127:128]
	v_mul_f64 v[121:122], v[102:103], s[54:55]
	v_add_f64 v[50:51], v[66:67], v[50:51]
	v_mul_f64 v[66:67], v[100:101], s[54:55]
	v_mul_f64 v[102:103], v[102:103], s[52:53]
	;; [unrolled: 1-line block ×3, first 2 shown]
	v_add_f64 v[111:112], v[111:112], v[129:130]
	v_add_f64 v[109:110], v[109:110], v[117:118]
	;; [unrolled: 1-line block ×4, first 2 shown]
	v_fma_f64 v[113:114], v[98:99], s[28:29], v[121:122]
	v_fma_f64 v[117:118], v[98:99], s[28:29], -v[121:122]
	v_fma_f64 v[119:120], v[96:97], s[28:29], -v[66:67]
	v_fma_f64 v[121:122], v[98:99], s[26:27], v[102:103]
	v_fma_f64 v[98:99], v[98:99], s[26:27], -v[102:103]
	v_fma_f64 v[102:103], v[96:97], s[26:27], -v[100:101]
	v_fma_f64 v[66:67], v[96:97], s[28:29], v[66:67]
	v_fma_f64 v[96:97], v[96:97], s[26:27], v[100:101]
	v_mul_f64 v[100:101], v[94:95], s[10:11]
	v_add_f64 v[62:63], v[113:114], v[62:63]
	v_add_f64 v[113:114], v[119:120], v[115:116]
	v_mul_f64 v[115:116], v[92:93], s[10:11]
	v_add_f64 v[54:55], v[117:118], v[54:55]
	v_add_f64 v[102:103], v[102:103], v[111:112]
	v_mul_f64 v[111:112], v[94:95], s[44:45]
	v_mul_f64 v[117:118], v[92:93], s[44:45]
	v_add_f64 v[66:67], v[66:67], v[107:108]
	v_fma_f64 v[107:108], v[90:91], s[20:21], v[100:101]
	v_fma_f64 v[100:101], v[90:91], s[20:21], -v[100:101]
	v_fma_f64 v[119:120], v[88:89], s[20:21], -v[115:116]
	v_fma_f64 v[115:116], v[88:89], s[20:21], v[115:116]
	v_add_f64 v[0:1], v[98:99], v[0:1]
	v_add_f64 v[2:3], v[96:97], v[2:3]
	v_fma_f64 v[96:97], v[90:91], s[36:37], v[111:112]
	v_fma_f64 v[98:99], v[88:89], s[36:37], -v[117:118]
	v_fma_f64 v[111:112], v[90:91], s[36:37], -v[111:112]
	v_add_f64 v[46:47], v[100:101], v[46:47]
	v_mul_f64 v[100:101], v[94:95], s[52:53]
	v_add_f64 v[18:19], v[115:116], v[18:19]
	v_mul_f64 v[115:116], v[92:93], s[6:7]
	v_add_f64 v[8:9], v[107:108], v[8:9]
	v_add_f64 v[24:25], v[96:97], v[24:25]
	;; [unrolled: 1-line block ×3, first 2 shown]
	v_mul_f64 v[96:97], v[94:95], s[6:7]
	v_fma_f64 v[98:99], v[88:89], s[36:37], v[117:118]
	v_mul_f64 v[107:108], v[92:93], s[52:53]
	v_fma_f64 v[117:118], v[90:91], s[26:27], v[100:101]
	v_add_f64 v[10:11], v[111:112], v[10:11]
	v_fma_f64 v[100:101], v[90:91], s[26:27], -v[100:101]
	s_mov_b32 s57, 0x3fefdd0d
	s_mov_b32 s56, s4
	v_fma_f64 v[111:112], v[90:91], s[18:19], v[96:97]
	v_add_f64 v[26:27], v[98:99], v[26:27]
	v_fma_f64 v[98:99], v[88:89], s[18:19], -v[115:116]
	v_add_f64 v[32:33], v[119:120], v[32:33]
	v_fma_f64 v[119:120], v[88:89], s[26:27], -v[107:108]
	v_fma_f64 v[107:108], v[88:89], s[26:27], v[107:108]
	v_add_f64 v[36:37], v[117:118], v[36:37]
	v_mul_f64 v[117:118], v[94:95], s[38:39]
	v_add_f64 v[42:43], v[100:101], v[42:43]
	v_add_f64 v[44:45], v[111:112], v[44:45]
	v_mul_f64 v[100:101], v[92:93], s[38:39]
	v_add_f64 v[64:65], v[98:99], v[64:65]
	v_fma_f64 v[96:97], v[90:91], s[18:19], -v[96:97]
	v_fma_f64 v[98:99], v[88:89], s[18:19], v[115:116]
	v_mul_f64 v[111:112], v[94:95], s[56:57]
	v_add_f64 v[56:57], v[125:126], v[56:57]
	v_add_f64 v[60:61], v[119:120], v[60:61]
	;; [unrolled: 1-line block ×3, first 2 shown]
	v_fma_f64 v[107:108], v[90:91], s[40:41], v[117:118]
	v_mul_f64 v[119:120], v[92:93], s[56:57]
	v_add_f64 v[40:41], v[96:97], v[40:41]
	v_fma_f64 v[96:97], v[88:89], s[40:41], v[100:101]
	v_add_f64 v[48:49], v[98:99], v[48:49]
	v_fma_f64 v[98:99], v[90:91], s[12:13], v[111:112]
	v_fma_f64 v[115:116], v[88:89], s[40:41], -v[100:101]
	v_add_f64 v[6:7], v[121:122], v[6:7]
	v_add_f64 v[20:21], v[107:108], v[20:21]
	v_fma_f64 v[100:101], v[88:89], s[12:13], -v[119:120]
	v_fma_f64 v[107:108], v[90:91], s[12:13], -v[111:112]
	v_add_f64 v[56:57], v[96:97], v[56:57]
	v_fma_f64 v[96:97], v[88:89], s[12:13], v[119:120]
	v_mul_f64 v[111:112], v[94:95], s[24:25]
	v_add_f64 v[50:51], v[98:99], v[50:51]
	v_mul_f64 v[94:95], v[94:95], s[16:17]
	v_mul_f64 v[98:99], v[92:93], s[24:25]
	;; [unrolled: 1-line block ×3, first 2 shown]
	v_fma_f64 v[117:118], v[90:91], s[40:41], -v[117:118]
	v_add_f64 v[100:101], v[100:101], v[109:110]
	v_add_f64 v[52:53], v[107:108], v[52:53]
	;; [unrolled: 1-line block ×3, first 2 shown]
	v_fma_f64 v[104:105], v[90:91], s[34:35], v[111:112]
	v_fma_f64 v[107:108], v[90:91], s[34:35], -v[111:112]
	v_fma_f64 v[109:110], v[90:91], s[28:29], v[94:95]
	v_fma_f64 v[111:112], v[88:89], s[34:35], -v[98:99]
	v_fma_f64 v[90:91], v[90:91], s[28:29], -v[94:95]
	v_fma_f64 v[94:95], v[88:89], s[34:35], v[98:99]
	v_fma_f64 v[98:99], v[88:89], s[28:29], -v[92:93]
	v_fma_f64 v[88:89], v[88:89], s[28:29], v[92:93]
	v_mul_f64 v[92:93], v[86:87], s[16:17]
	v_add_f64 v[62:63], v[104:105], v[62:63]
	v_mul_f64 v[104:105], v[84:85], s[16:17]
	v_add_f64 v[6:7], v[109:110], v[6:7]
	;; [unrolled: 2-line block ×3, first 2 shown]
	v_add_f64 v[94:95], v[98:99], v[102:103]
	v_mul_f64 v[102:103], v[86:87], s[42:43]
	v_fma_f64 v[98:99], v[80:81], s[28:29], v[92:93]
	v_add_f64 v[54:55], v[107:108], v[54:55]
	v_fma_f64 v[107:108], v[82:83], s[28:29], -v[104:105]
	v_fma_f64 v[92:93], v[80:81], s[28:29], -v[92:93]
	v_add_f64 v[0:1], v[90:91], v[0:1]
	v_fma_f64 v[90:91], v[82:83], s[28:29], v[104:105]
	v_add_f64 v[2:3], v[88:89], v[2:3]
	v_fma_f64 v[88:89], v[80:81], s[20:21], v[102:103]
	v_add_f64 v[8:9], v[98:99], v[8:9]
	v_fma_f64 v[98:99], v[82:83], s[20:21], -v[109:110]
	v_add_f64 v[32:33], v[107:108], v[32:33]
	v_add_f64 v[46:47], v[92:93], v[46:47]
	v_mul_f64 v[92:93], v[86:87], s[24:25]
	v_add_f64 v[18:19], v[90:91], v[18:19]
	v_mul_f64 v[90:91], v[84:85], s[24:25]
	v_fma_f64 v[102:103], v[80:81], s[20:21], -v[102:103]
	v_add_f64 v[24:25], v[88:89], v[24:25]
	v_fma_f64 v[88:89], v[82:83], s[20:21], v[109:110]
	v_add_f64 v[38:39], v[98:99], v[38:39]
	v_mul_f64 v[98:99], v[86:87], s[30:31]
	v_mul_f64 v[107:108], v[84:85], s[30:31]
	v_fma_f64 v[104:105], v[80:81], s[34:35], v[92:93]
	v_fma_f64 v[109:110], v[82:83], s[34:35], -v[90:91]
	v_add_f64 v[10:11], v[102:103], v[10:11]
	v_fma_f64 v[92:93], v[80:81], s[34:35], -v[92:93]
	v_add_f64 v[26:27], v[88:89], v[26:27]
	v_fma_f64 v[88:89], v[82:83], s[34:35], v[90:91]
	v_fma_f64 v[90:91], v[80:81], s[36:37], v[98:99]
	v_fma_f64 v[102:103], v[82:83], s[36:37], -v[107:108]
	v_add_f64 v[36:37], v[104:105], v[36:37]
	v_mul_f64 v[104:105], v[86:87], s[56:57]
	v_add_f64 v[60:61], v[109:110], v[60:61]
	v_add_f64 v[42:43], v[92:93], v[42:43]
	v_mul_f64 v[92:93], v[84:85], s[56:57]
	v_add_f64 v[34:35], v[88:89], v[34:35]
	v_add_f64 v[44:45], v[90:91], v[44:45]
	v_fma_f64 v[88:89], v[80:81], s[36:37], -v[98:99]
	v_add_f64 v[64:65], v[102:103], v[64:65]
	v_fma_f64 v[90:91], v[82:83], s[36:37], v[107:108]
	v_mul_f64 v[102:103], v[86:87], s[22:23]
	v_fma_f64 v[98:99], v[80:81], s[12:13], v[104:105]
	v_mul_f64 v[109:110], v[84:85], s[22:23]
	v_fma_f64 v[107:108], v[82:83], s[12:13], -v[92:93]
	v_fma_f64 v[104:105], v[80:81], s[12:13], -v[104:105]
	v_add_f64 v[40:41], v[88:89], v[40:41]
	v_fma_f64 v[88:89], v[82:83], s[12:13], v[92:93]
	v_add_f64 v[48:49], v[90:91], v[48:49]
	v_fma_f64 v[90:91], v[80:81], s[26:27], v[102:103]
	v_add_f64 v[20:21], v[98:99], v[20:21]
	v_fma_f64 v[92:93], v[82:83], s[26:27], -v[109:110]
	v_fma_f64 v[98:99], v[80:81], s[26:27], -v[102:103]
	v_mul_f64 v[102:103], v[86:87], s[38:39]
	v_mul_f64 v[86:87], v[86:87], s[46:47]
	v_add_f64 v[56:57], v[88:89], v[56:57]
	v_fma_f64 v[88:89], v[82:83], s[26:27], v[109:110]
	v_add_f64 v[50:51], v[90:91], v[50:51]
	v_mul_f64 v[90:91], v[84:85], s[38:39]
	v_mul_f64 v[84:85], v[84:85], s[46:47]
	v_add_f64 v[92:93], v[92:93], v[100:101]
	v_add_f64 v[52:53], v[98:99], v[52:53]
	v_fma_f64 v[98:99], v[80:81], s[40:41], -v[102:103]
	v_fma_f64 v[100:101], v[80:81], s[18:19], v[86:87]
	v_add_f64 v[88:89], v[88:89], v[96:97]
	v_fma_f64 v[96:97], v[80:81], s[40:41], v[102:103]
	v_fma_f64 v[102:103], v[82:83], s[40:41], -v[90:91]
	v_fma_f64 v[80:81], v[80:81], s[18:19], -v[86:87]
	v_fma_f64 v[86:87], v[82:83], s[40:41], v[90:91]
	v_fma_f64 v[90:91], v[82:83], s[18:19], -v[84:85]
	v_fma_f64 v[82:83], v[82:83], s[18:19], v[84:85]
	v_mul_f64 v[84:85], v[78:79], s[30:31]
	v_add_f64 v[6:7], v[100:101], v[6:7]
	v_add_f64 v[62:63], v[96:97], v[62:63]
	v_mul_f64 v[96:97], v[76:77], s[30:31]
	v_mul_f64 v[100:101], v[76:77], s[46:47]
	v_add_f64 v[66:67], v[86:87], v[66:67]
	v_add_f64 v[86:87], v[90:91], v[94:95]
	v_mul_f64 v[94:95], v[78:79], s[46:47]
	v_fma_f64 v[90:91], v[72:73], s[36:37], v[84:85]
	v_add_f64 v[54:55], v[98:99], v[54:55]
	v_fma_f64 v[84:85], v[72:73], s[36:37], -v[84:85]
	v_fma_f64 v[98:99], v[74:75], s[36:37], -v[96:97]
	v_add_f64 v[0:1], v[80:81], v[0:1]
	v_fma_f64 v[80:81], v[74:75], s[36:37], v[96:97]
	v_add_f64 v[2:3], v[82:83], v[2:3]
	v_fma_f64 v[82:83], v[72:73], s[18:19], v[94:95]
	v_add_f64 v[8:9], v[90:91], v[8:9]
	v_fma_f64 v[90:91], v[74:75], s[18:19], -v[100:101]
	v_add_f64 v[46:47], v[84:85], v[46:47]
	v_add_f64 v[32:33], v[98:99], v[32:33]
	v_mul_f64 v[84:85], v[78:79], s[4:5]
	v_add_f64 v[18:19], v[80:81], v[18:19]
	v_mul_f64 v[80:81], v[76:77], s[4:5]
	v_fma_f64 v[94:95], v[72:73], s[18:19], -v[94:95]
	v_add_f64 v[24:25], v[82:83], v[24:25]
	v_fma_f64 v[82:83], v[74:75], s[18:19], v[100:101]
	v_add_f64 v[38:39], v[90:91], v[38:39]
	v_mul_f64 v[90:91], v[78:79], s[54:55]
	v_mul_f64 v[98:99], v[76:77], s[54:55]
	v_fma_f64 v[96:97], v[72:73], s[12:13], v[84:85]
	v_fma_f64 v[100:101], v[74:75], s[12:13], -v[80:81]
	v_add_f64 v[10:11], v[94:95], v[10:11]
	v_fma_f64 v[84:85], v[72:73], s[12:13], -v[84:85]
	v_add_f64 v[26:27], v[82:83], v[26:27]
	v_fma_f64 v[80:81], v[74:75], s[12:13], v[80:81]
	v_fma_f64 v[82:83], v[72:73], s[28:29], v[90:91]
	v_fma_f64 v[94:95], v[74:75], s[28:29], -v[98:99]
	v_add_f64 v[36:37], v[96:97], v[36:37]
	v_mul_f64 v[96:97], v[78:79], s[24:25]
	v_add_f64 v[22:23], v[117:118], v[22:23]
	v_add_f64 v[42:43], v[84:85], v[42:43]
	v_mul_f64 v[84:85], v[76:77], s[24:25]
	v_add_f64 v[34:35], v[80:81], v[34:35]
	v_add_f64 v[44:45], v[82:83], v[44:45]
	v_fma_f64 v[80:81], v[72:73], s[28:29], -v[90:91]
	v_add_f64 v[64:65], v[94:95], v[64:65]
	v_fma_f64 v[82:83], v[74:75], s[28:29], v[98:99]
	v_mul_f64 v[94:95], v[78:79], s[38:39]
	v_add_f64 v[60:61], v[100:101], v[60:61]
	v_fma_f64 v[90:91], v[72:73], s[34:35], v[96:97]
	v_mul_f64 v[100:101], v[76:77], s[38:39]
	v_add_f64 v[22:23], v[104:105], v[22:23]
	v_add_f64 v[40:41], v[80:81], v[40:41]
	v_fma_f64 v[80:81], v[74:75], s[34:35], v[84:85]
	v_add_f64 v[48:49], v[82:83], v[48:49]
	v_fma_f64 v[82:83], v[72:73], s[40:41], v[94:95]
	v_fma_f64 v[98:99], v[74:75], s[34:35], -v[84:85]
	v_fma_f64 v[96:97], v[72:73], s[34:35], -v[96:97]
	v_add_f64 v[20:21], v[90:91], v[20:21]
	v_fma_f64 v[84:85], v[74:75], s[40:41], -v[100:101]
	v_fma_f64 v[90:91], v[72:73], s[40:41], -v[94:95]
	v_add_f64 v[56:57], v[80:81], v[56:57]
	v_fma_f64 v[80:81], v[74:75], s[40:41], v[100:101]
	v_mul_f64 v[94:95], v[78:79], s[52:53]
	v_add_f64 v[50:51], v[82:83], v[50:51]
	v_mul_f64 v[78:79], v[78:79], s[10:11]
	v_mul_f64 v[82:83], v[76:77], s[52:53]
	;; [unrolled: 1-line block ×3, first 2 shown]
	v_add_f64 v[22:23], v[96:97], v[22:23]
	v_add_f64 v[84:85], v[84:85], v[92:93]
	;; [unrolled: 1-line block ×4, first 2 shown]
	v_fma_f64 v[88:89], v[72:73], s[26:27], v[94:95]
	v_fma_f64 v[90:91], v[72:73], s[26:27], -v[94:95]
	v_fma_f64 v[92:93], v[72:73], s[20:21], v[78:79]
	v_fma_f64 v[94:95], v[74:75], s[26:27], -v[82:83]
	v_fma_f64 v[72:73], v[72:73], s[20:21], -v[78:79]
	v_fma_f64 v[78:79], v[74:75], s[26:27], v[82:83]
	v_fma_f64 v[82:83], v[74:75], s[20:21], -v[76:77]
	v_fma_f64 v[74:75], v[74:75], s[20:21], v[76:77]
	v_mul_f64 v[76:77], v[14:15], s[38:39]
	v_mul_f64 v[96:97], v[12:13], s[38:39]
	v_add_f64 v[111:112], v[111:112], v[113:114]
	v_add_f64 v[54:55], v[90:91], v[54:55]
	v_mul_f64 v[90:91], v[14:15], s[48:49]
	v_add_f64 v[66:67], v[78:79], v[66:67]
	v_add_f64 v[78:79], v[82:83], v[86:87]
	;; [unrolled: 1-line block ×3, first 2 shown]
	v_fma_f64 v[82:83], v[30:31], s[40:41], v[76:77]
	v_fma_f64 v[86:87], v[28:29], s[40:41], -v[96:97]
	v_mul_f64 v[72:73], v[12:13], s[48:49]
	v_fma_f64 v[76:77], v[30:31], s[40:41], -v[76:77]
	v_add_f64 v[102:103], v[102:103], v[111:112]
	v_add_f64 v[6:7], v[92:93], v[6:7]
	v_fma_f64 v[92:93], v[28:29], s[40:41], v[96:97]
	v_add_f64 v[2:3], v[74:75], v[2:3]
	v_add_f64 v[8:9], v[82:83], v[8:9]
	;; [unrolled: 1-line block ×3, first 2 shown]
	v_fma_f64 v[32:33], v[30:31], s[34:35], v[90:91]
	v_mul_f64 v[82:83], v[14:15], s[30:31]
	v_fma_f64 v[86:87], v[28:29], s[34:35], -v[72:73]
	v_add_f64 v[46:47], v[76:77], v[46:47]
	v_mul_f64 v[76:77], v[12:13], s[30:31]
	v_fma_f64 v[72:73], v[28:29], s[34:35], v[72:73]
	v_add_f64 v[58:59], v[115:116], v[58:59]
	v_add_f64 v[62:63], v[88:89], v[62:63]
	;; [unrolled: 1-line block ×4, first 2 shown]
	v_fma_f64 v[90:91], v[30:31], s[34:35], -v[90:91]
	v_add_f64 v[24:25], v[32:33], v[24:25]
	v_fma_f64 v[32:33], v[30:31], s[36:37], v[82:83]
	v_add_f64 v[38:39], v[86:87], v[38:39]
	v_mul_f64 v[86:87], v[14:15], s[52:53]
	v_mul_f64 v[92:93], v[12:13], s[52:53]
	v_fma_f64 v[94:95], v[28:29], s[36:37], -v[76:77]
	v_add_f64 v[26:27], v[72:73], v[26:27]
	v_fma_f64 v[72:73], v[30:31], s[36:37], -v[82:83]
	v_add_f64 v[58:59], v[107:108], v[58:59]
	v_add_f64 v[10:11], v[90:91], v[10:11]
	;; [unrolled: 1-line block ×3, first 2 shown]
	v_fma_f64 v[36:37], v[28:29], s[36:37], v[76:77]
	v_fma_f64 v[76:77], v[30:31], s[26:27], v[86:87]
	v_fma_f64 v[82:83], v[28:29], s[26:27], -v[92:93]
	v_add_f64 v[60:61], v[94:95], v[60:61]
	v_mul_f64 v[90:91], v[14:15], s[16:17]
	v_mul_f64 v[94:95], v[12:13], s[16:17]
	v_add_f64 v[42:43], v[72:73], v[42:43]
	v_fma_f64 v[72:73], v[30:31], s[26:27], -v[86:87]
	v_add_f64 v[58:59], v[98:99], v[58:59]
	v_add_f64 v[36:37], v[36:37], v[34:35]
	;; [unrolled: 1-line block ×4, first 2 shown]
	v_fma_f64 v[64:65], v[28:29], s[26:27], v[92:93]
	v_fma_f64 v[76:77], v[30:31], s[28:29], v[90:91]
	v_fma_f64 v[82:83], v[28:29], s[28:29], -v[94:95]
	v_mul_f64 v[86:87], v[14:15], s[46:47]
	v_add_f64 v[40:41], v[72:73], v[40:41]
	v_mul_f64 v[72:73], v[12:13], s[46:47]
	v_fma_f64 v[90:91], v[30:31], s[28:29], -v[90:91]
	v_fma_f64 v[92:93], v[28:29], s[28:29], v[94:95]
	v_add_f64 v[48:49], v[64:65], v[48:49]
	v_add_f64 v[20:21], v[76:77], v[20:21]
	;; [unrolled: 1-line block ×3, first 2 shown]
	v_fma_f64 v[58:59], v[30:31], s[18:19], v[86:87]
	v_mul_f64 v[76:77], v[14:15], s[10:11]
	v_fma_f64 v[82:83], v[28:29], s[18:19], -v[72:73]
	v_fma_f64 v[72:73], v[28:29], s[18:19], v[72:73]
	v_mul_f64 v[14:15], v[14:15], s[56:57]
	v_add_f64 v[22:23], v[90:91], v[22:23]
	v_add_f64 v[90:91], v[92:93], v[56:57]
	v_fma_f64 v[56:57], v[30:31], s[18:19], -v[86:87]
	v_mul_f64 v[86:87], v[12:13], s[10:11]
	v_add_f64 v[50:51], v[58:59], v[50:51]
	v_fma_f64 v[58:59], v[30:31], s[20:21], v[76:77]
	v_mul_f64 v[12:13], v[12:13], s[56:57]
	v_add_f64 v[72:73], v[72:73], v[80:81]
	v_fma_f64 v[80:81], v[30:31], s[12:13], v[14:15]
	v_fma_f64 v[14:15], v[30:31], s[12:13], -v[14:15]
	v_fma_f64 v[76:77], v[30:31], s[20:21], -v[76:77]
	v_add_f64 v[52:53], v[56:57], v[52:53]
	v_fma_f64 v[56:57], v[28:29], s[20:21], -v[86:87]
	v_add_f64 v[82:83], v[82:83], v[84:85]
	v_add_f64 v[58:59], v[58:59], v[62:63]
	v_fma_f64 v[62:63], v[28:29], s[20:21], v[86:87]
	v_fma_f64 v[84:85], v[28:29], s[12:13], -v[12:13]
	v_fma_f64 v[12:13], v[28:29], s[12:13], v[12:13]
	v_add_f64 v[6:7], v[80:81], v[6:7]
	v_add_f64 v[0:1], v[14:15], v[0:1]
	;; [unrolled: 1-line block ×4, first 2 shown]
	s_load_dwordx2 s[58:59], s[2:3], 0x0
	s_movk_i32 s2, 0x88
	v_add_f64 v[62:63], v[62:63], v[66:67]
	v_add_f64 v[66:67], v[84:85], v[78:79]
	v_add_f64 v[76:77], v[12:13], v[2:3]
	v_mad_u32_u24 v78, v106, s2, 0
	ds_write2_b64 v78, v[4:5], v[8:9] offset1:1
	ds_write2_b64 v78, v[24:25], v[32:33] offset0:2 offset1:3
	ds_write2_b64 v78, v[34:35], v[20:21] offset0:4 offset1:5
	;; [unrolled: 1-line block ×7, first 2 shown]
	ds_write_b64 v78, v[46:47] offset:128
	v_lshlrev_b32_e32 v0, 7, v106
	v_sub_u32_e32 v107, v78, v0
	v_add_u32_e32 v80, 0x400, v107
	v_add_u32_e32 v108, 0x800, v107
	;; [unrolled: 1-line block ×7, first 2 shown]
	s_movk_i32 s2, 0xf1
	s_waitcnt lgkmcnt(0)
	s_barrier
	ds_read2_b64 v[4:7], v107 offset1:102
	ds_read2_b64 v[0:3], v80 offset0:76 offset1:178
	ds_read2_b64 v[28:31], v108 offset0:152 offset1:254
	;; [unrolled: 1-line block ×7, first 2 shown]
	ds_read_b64 v[88:89], v107 offset:13056
	s_waitcnt lgkmcnt(0)
	s_barrier
	ds_write2_b64 v78, v[16:17], v[74:75] offset1:1
	ds_write2_b64 v78, v[38:39], v[60:61] offset0:2 offset1:3
	ds_write2_b64 v78, v[44:45], v[64:65] offset0:4 offset1:5
	;; [unrolled: 1-line block ×7, first 2 shown]
	ds_write_b64 v78, v[18:19] offset:128
	v_mul_lo_u16_sdwa v16, v106, s2 dst_sel:DWORD dst_unused:UNUSED_PAD src0_sel:BYTE_0 src1_sel:DWORD
	v_lshrrev_b16_e32 v50, 12, v16
	v_mul_lo_u16_e32 v16, 17, v50
	v_sub_u16_e32 v51, v106, v16
	v_mov_b32_e32 v16, 8
	v_lshlrev_b32_sdwa v16, v16, v51 dst_sel:DWORD dst_unused:UNUSED_PAD src0_sel:DWORD src1_sel:BYTE_0
	s_waitcnt lgkmcnt(0)
	s_barrier
	global_load_dwordx4 v[36:39], v16, s[8:9] offset:16
	global_load_dwordx4 v[40:43], v16, s[8:9] offset:32
	;; [unrolled: 1-line block ×11, first 2 shown]
	global_load_dwordx4 v[123:126], v16, s[8:9]
	global_load_dwordx4 v[127:130], v16, s[8:9] offset:176
	global_load_dwordx4 v[20:23], v16, s[8:9] offset:192
	;; [unrolled: 1-line block ×3, first 2 shown]
	s_nop 0
	global_load_dwordx4 v[16:19], v16, s[8:9] offset:224
	ds_read2_b64 v[64:67], v80 offset0:76 offset1:178
	ds_read2_b64 v[131:134], v108 offset0:152 offset1:254
	v_mul_u32_u24_e32 v50, 0x908, v50
	s_movk_i32 s2, 0x55
	v_cmp_gt_u32_e64 s[2:3], s2, v106
	s_waitcnt vmcnt(15) lgkmcnt(1)
	v_mul_f64 v[48:49], v[64:65], v[38:39]
	v_mul_f64 v[38:39], v[0:1], v[38:39]
	s_waitcnt vmcnt(14)
	v_mul_f64 v[72:73], v[66:67], v[42:43]
	v_mul_f64 v[42:43], v[2:3], v[42:43]
	v_fma_f64 v[90:91], v[0:1], v[36:37], v[48:49]
	s_waitcnt vmcnt(13) lgkmcnt(0)
	v_mul_f64 v[48:49], v[131:132], v[46:47]
	v_fma_f64 v[82:83], v[64:65], v[36:37], -v[38:39]
	v_fma_f64 v[86:87], v[2:3], v[40:41], v[72:73]
	v_mul_f64 v[36:37], v[28:29], v[46:47]
	ds_read2_b64 v[0:3], v109 offset0:100 offset1:202
	s_waitcnt vmcnt(12)
	v_mul_f64 v[38:39], v[133:134], v[62:63]
	v_mul_f64 v[46:47], v[30:31], v[62:63]
	v_fma_f64 v[84:85], v[66:67], v[40:41], -v[42:43]
	s_waitcnt vmcnt(11)
	v_mul_f64 v[40:41], v[32:33], v[78:79]
	s_waitcnt vmcnt(10) lgkmcnt(0)
	v_mul_f64 v[42:43], v[2:3], v[94:95]
	v_fma_f64 v[74:75], v[28:29], v[44:45], v[48:49]
	v_mul_f64 v[28:29], v[0:1], v[78:79]
	v_fma_f64 v[78:79], v[131:132], v[44:45], -v[36:37]
	v_fma_f64 v[64:65], v[30:31], v[60:61], v[38:39]
	v_fma_f64 v[66:67], v[133:134], v[60:61], -v[46:47]
	ds_read2_b64 v[60:63], v110 offset0:48 offset1:150
	v_mul_f64 v[30:31], v[34:35], v[94:95]
	v_fma_f64 v[46:47], v[0:1], v[76:77], -v[40:41]
	v_fma_f64 v[36:37], v[34:35], v[92:93], v[42:43]
	v_fma_f64 v[44:45], v[32:33], v[76:77], v[28:29]
	s_waitcnt vmcnt(9) lgkmcnt(0)
	v_mul_f64 v[0:1], v[60:61], v[98:99]
	s_waitcnt vmcnt(8)
	v_mul_f64 v[34:35], v[62:63], v[102:103]
	ds_read2_b64 v[131:134], v81 offset0:124 offset1:226
	v_mul_f64 v[32:33], v[52:53], v[98:99]
	v_mul_f64 v[38:39], v[54:55], v[102:103]
	v_fma_f64 v[40:41], v[2:3], v[92:93], -v[30:31]
	s_waitcnt vmcnt(7)
	v_mul_f64 v[48:49], v[56:57], v[113:114]
	s_waitcnt lgkmcnt(0)
	v_mul_f64 v[42:43], v[131:132], v[113:114]
	v_fma_f64 v[28:29], v[52:53], v[96:97], v[0:1]
	v_fma_f64 v[30:31], v[54:55], v[100:101], v[34:35]
	ds_read2_b64 v[52:55], v104 offset0:72 offset1:174
	ds_read2_b64 v[0:3], v107 offset1:102
	s_waitcnt vmcnt(6)
	v_mul_f64 v[72:73], v[133:134], v[117:118]
	v_fma_f64 v[34:35], v[62:63], v[100:101], -v[38:39]
	s_waitcnt vmcnt(4)
	v_mul_f64 v[62:63], v[6:7], v[125:126]
	v_mul_f64 v[76:77], v[58:59], v[117:118]
	s_waitcnt lgkmcnt(0)
	v_mul_f64 v[94:95], v[2:3], v[125:126]
	v_fma_f64 v[38:39], v[56:57], v[111:112], v[42:43]
	v_fma_f64 v[42:43], v[131:132], v[111:112], -v[48:49]
	v_mul_f64 v[56:57], v[88:89], v[121:122]
	v_fma_f64 v[48:49], v[58:59], v[115:116], v[72:73]
	s_waitcnt vmcnt(3)
	v_mul_f64 v[58:59], v[52:53], v[129:130]
	v_fma_f64 v[32:33], v[60:61], v[96:97], -v[32:33]
	ds_read_b64 v[60:61], v107 offset:13056
	v_fma_f64 v[94:95], v[6:7], v[123:124], v[94:95]
	v_mul_f64 v[96:97], v[12:13], v[129:130]
	v_fma_f64 v[92:93], v[2:3], v[123:124], -v[62:63]
	s_waitcnt vmcnt(2)
	v_mul_f64 v[2:3], v[54:55], v[22:23]
	s_waitcnt lgkmcnt(0)
	v_mul_f64 v[98:99], v[60:61], v[121:122]
	v_fma_f64 v[72:73], v[12:13], v[127:128], v[58:59]
	v_mul_f64 v[12:13], v[14:15], v[22:23]
	v_fma_f64 v[80:81], v[60:61], v[119:120], -v[56:57]
	v_add_f64 v[22:23], v[4:5], v[94:95]
	ds_read2_b64 v[56:59], v105 offset0:148 offset1:250
	v_fma_f64 v[62:63], v[133:134], v[115:116], -v[76:77]
	v_fma_f64 v[76:77], v[52:53], v[127:128], -v[96:97]
	v_fma_f64 v[96:97], v[88:89], v[119:120], v[98:99]
	v_fma_f64 v[88:89], v[14:15], v[20:21], v[2:3]
	s_waitcnt vmcnt(0) lgkmcnt(0)
	v_mul_f64 v[52:53], v[58:59], v[18:19]
	v_mul_f64 v[18:19], v[10:11], v[18:19]
	;; [unrolled: 1-line block ×3, first 2 shown]
	v_add_f64 v[22:23], v[22:23], v[90:91]
	v_add_f64 v[6:7], v[92:93], -v[80:81]
	v_mul_f64 v[14:15], v[8:9], v[26:27]
	v_add_f64 v[60:61], v[94:95], v[96:97]
	v_fma_f64 v[26:27], v[54:55], v[20:21], -v[12:13]
	v_fma_f64 v[104:105], v[10:11], v[16:17], v[52:53]
	v_fma_f64 v[98:99], v[58:59], v[16:17], -v[18:19]
	v_fma_f64 v[102:103], v[8:9], v[24:25], v[2:3]
	v_add_f64 v[8:9], v[22:23], v[86:87]
	v_mul_f64 v[111:112], v[6:7], s[24:25]
	v_fma_f64 v[100:101], v[56:57], v[24:25], -v[14:15]
	v_mul_f64 v[12:13], v[6:7], s[22:23]
	v_mul_f64 v[2:3], v[6:7], s[6:7]
	v_add_f64 v[58:59], v[90:91], v[104:105]
	v_add_f64 v[52:53], v[82:83], -v[98:99]
	v_mul_f64 v[18:19], v[6:7], s[4:5]
	v_add_f64 v[8:9], v[8:9], v[74:75]
	v_fma_f64 v[10:11], v[60:61], s[34:35], v[111:112]
	v_fma_f64 v[14:15], v[60:61], s[34:35], -v[111:112]
	v_add_f64 v[116:117], v[84:85], -v[100:101]
	v_mul_f64 v[20:21], v[6:7], s[10:11]
	v_mul_f64 v[24:25], v[6:7], s[16:17]
	;; [unrolled: 1-line block ×4, first 2 shown]
	v_add_f64 v[8:9], v[8:9], v[64:65]
	v_mul_f64 v[6:7], v[6:7], s[38:39]
	v_add_f64 v[10:11], v[4:5], v[10:11]
	v_add_f64 v[122:123], v[86:87], v[102:103]
	v_mul_f64 v[124:125], v[116:117], s[6:7]
	v_add_f64 v[128:129], v[78:79], -v[26:27]
	v_fma_f64 v[120:121], v[58:59], s[26:27], v[112:113]
	v_fma_f64 v[16:17], v[60:61], s[26:27], v[12:13]
	v_add_f64 v[8:9], v[8:9], v[44:45]
	v_fma_f64 v[12:13], v[60:61], s[26:27], -v[12:13]
	v_fma_f64 v[22:23], v[60:61], s[18:19], v[2:3]
	v_fma_f64 v[2:3], v[60:61], s[18:19], -v[2:3]
	v_fma_f64 v[56:57], v[60:61], s[12:13], v[18:19]
	;; [unrolled: 2-line block ×6, first 2 shown]
	v_fma_f64 v[6:7], v[60:61], s[40:41], -v[6:7]
	v_add_f64 v[10:11], v[120:121], v[10:11]
	v_fma_f64 v[60:61], v[122:123], s[18:19], v[124:125]
	v_add_f64 v[120:121], v[74:75], v[88:89]
	v_mul_f64 v[132:133], v[128:129], s[4:5]
	v_add_f64 v[134:135], v[66:67], -v[76:77]
	v_add_f64 v[8:9], v[8:9], v[36:37]
	v_add_f64 v[136:137], v[64:65], v[72:73]
	v_add_f64 v[140:141], v[46:47], -v[62:63]
	v_add_f64 v[142:143], v[44:45], v[48:49]
	v_add_f64 v[10:11], v[60:61], v[10:11]
	v_add_f64 v[146:147], v[40:41], -v[42:43]
	v_fma_f64 v[60:61], v[120:121], s[12:13], v[132:133]
	v_mul_f64 v[138:139], v[134:135], s[10:11]
	v_add_f64 v[8:9], v[8:9], v[28:29]
	v_add_f64 v[148:149], v[36:37], v[38:39]
	v_mul_f64 v[144:145], v[140:141], s[16:17]
	v_add_f64 v[152:153], v[32:33], -v[34:35]
	v_mul_f64 v[154:155], v[52:53], s[4:5]
	v_mul_f64 v[150:151], v[146:147], s[30:31]
	v_add_f64 v[10:11], v[60:61], v[10:11]
	v_fma_f64 v[60:61], v[136:137], s[20:21], v[138:139]
	v_add_f64 v[8:9], v[8:9], v[30:31]
	v_mul_f64 v[156:157], v[52:53], s[16:17]
	v_add_f64 v[158:159], v[28:29], v[30:31]
	v_mul_f64 v[160:161], v[152:153], s[38:39]
	v_add_f64 v[16:17], v[4:5], v[16:17]
	v_add_f64 v[22:23], v[4:5], v[22:23]
	v_fma_f64 v[162:163], v[58:59], s[12:13], v[154:155]
	v_add_f64 v[10:11], v[60:61], v[10:11]
	v_fma_f64 v[60:61], v[142:143], s[28:29], v[144:145]
	;; [unrolled: 2-line block ×3, first 2 shown]
	v_mul_f64 v[166:167], v[116:117], s[16:17]
	v_mul_f64 v[168:169], v[116:117], s[50:51]
	;; [unrolled: 1-line block ×4, first 2 shown]
	v_add_f64 v[14:15], v[4:5], v[14:15]
	v_add_f64 v[10:11], v[60:61], v[10:11]
	v_fma_f64 v[60:61], v[148:149], s[36:37], v[150:151]
	v_add_f64 v[8:9], v[8:9], v[48:49]
	v_add_f64 v[12:13], v[4:5], v[12:13]
	;; [unrolled: 1-line block ×14, first 2 shown]
	v_fma_f64 v[10:11], v[158:159], s[40:41], v[160:161]
	v_add_f64 v[8:9], v[8:9], v[72:73]
	v_add_f64 v[16:17], v[162:163], v[16:17]
	;; [unrolled: 1-line block ×3, first 2 shown]
	v_fma_f64 v[60:61], v[122:123], s[28:29], v[166:167]
	v_fma_f64 v[162:163], v[122:123], s[40:41], v[168:169]
	v_mul_f64 v[164:165], v[128:129], s[38:39]
	v_mul_f64 v[170:171], v[128:129], s[42:43]
	v_fma_f64 v[206:207], v[58:59], s[20:21], v[198:199]
	v_fma_f64 v[208:209], v[58:59], s[18:19], v[200:201]
	v_mul_f64 v[210:211], v[116:117], s[24:25]
	v_mul_f64 v[212:213], v[116:117], s[4:5]
	v_add_f64 v[6:7], v[10:11], v[6:7]
	v_mov_b32_e32 v10, 3
	v_add_f64 v[8:9], v[8:9], v[88:89]
	v_lshlrev_b32_sdwa v51, v10, v51 dst_sel:DWORD dst_unused:UNUSED_PAD src0_sel:DWORD src1_sel:BYTE_0
	v_add_f64 v[10:11], v[60:61], v[16:17]
	v_add_f64 v[16:17], v[162:163], v[22:23]
	v_fma_f64 v[22:23], v[120:121], s[40:41], v[164:165]
	v_fma_f64 v[60:61], v[120:121], s[20:21], v[170:171]
	v_mul_f64 v[162:163], v[134:135], s[44:45]
	v_mul_f64 v[172:173], v[134:135], s[52:53]
	v_add_f64 v[118:119], v[206:207], v[118:119]
	v_add_f64 v[126:127], v[208:209], v[126:127]
	v_fma_f64 v[206:207], v[122:123], s[34:35], v[210:211]
	v_fma_f64 v[208:209], v[122:123], s[12:13], v[212:213]
	v_mul_f64 v[214:215], v[128:129], s[30:31]
	v_mul_f64 v[216:217], v[128:129], s[54:55]
	v_add_f64 v[8:9], v[8:9], v[102:103]
	v_add3_u32 v111, 0, v50, v51
	v_add_f64 v[10:11], v[22:23], v[10:11]
	v_add_f64 v[16:17], v[60:61], v[16:17]
	v_fma_f64 v[22:23], v[136:137], s[36:37], v[162:163]
	v_fma_f64 v[50:51], v[136:137], s[26:27], v[172:173]
	v_mul_f64 v[60:61], v[140:141], s[42:43]
	v_mul_f64 v[174:175], v[140:141], s[24:25]
	;; [unrolled: 1-line block ×4, first 2 shown]
	v_add_f64 v[118:119], v[206:207], v[118:119]
	v_add_f64 v[126:127], v[208:209], v[126:127]
	v_fma_f64 v[206:207], v[120:121], s[36:37], v[214:215]
	v_fma_f64 v[208:209], v[120:121], s[28:29], v[216:217]
	v_mul_f64 v[222:223], v[134:135], s[56:57]
	v_add_f64 v[8:9], v[8:9], v[104:105]
	v_add_f64 v[10:11], v[22:23], v[10:11]
	v_add_f64 v[16:17], v[50:51], v[16:17]
	v_fma_f64 v[22:23], v[142:143], s[20:21], v[60:61]
	v_fma_f64 v[50:51], v[142:143], s[34:35], v[174:175]
	v_mul_f64 v[180:181], v[146:147], s[46:47]
	v_mul_f64 v[182:183], v[146:147], s[4:5]
	v_fma_f64 v[184:185], v[58:59], s[40:41], v[176:177]
	v_fma_f64 v[186:187], v[58:59], s[36:37], v[178:179]
	v_mul_f64 v[188:189], v[116:117], s[42:43]
	v_mul_f64 v[190:191], v[116:117], s[52:53]
	v_add_f64 v[118:119], v[206:207], v[118:119]
	v_add_f64 v[126:127], v[208:209], v[126:127]
	v_fma_f64 v[206:207], v[136:137], s[12:13], v[222:223]
	v_mul_f64 v[208:209], v[140:141], s[22:23]
	v_mul_f64 v[52:53], v[52:53], s[48:49]
	v_add_f64 v[8:9], v[8:9], v[96:97]
	v_add_f64 v[10:11], v[22:23], v[10:11]
	;; [unrolled: 1-line block ×3, first 2 shown]
	v_fma_f64 v[22:23], v[148:149], s[18:19], v[180:181]
	v_fma_f64 v[50:51], v[148:149], s[12:13], v[182:183]
	v_add_f64 v[56:57], v[184:185], v[56:57]
	v_add_f64 v[114:115], v[186:187], v[114:115]
	v_fma_f64 v[184:185], v[122:123], s[20:21], v[188:189]
	v_fma_f64 v[186:187], v[122:123], s[26:27], v[190:191]
	v_mul_f64 v[192:193], v[128:129], s[48:49]
	v_mul_f64 v[194:195], v[128:129], s[6:7]
	v_add_f64 v[118:119], v[206:207], v[118:119]
	v_fma_f64 v[206:207], v[142:143], s[26:27], v[208:209]
	v_fma_f64 v[232:233], v[58:59], s[34:35], v[52:53]
	v_mul_f64 v[116:117], v[116:117], s[30:31]
	v_fma_f64 v[52:53], v[58:59], s[34:35], -v[52:53]
	s_barrier
	ds_write2_b64 v111, v[8:9], v[6:7] offset1:17
	v_add_f64 v[6:7], v[22:23], v[10:11]
	v_add_f64 v[10:11], v[50:51], v[16:17]
	;; [unrolled: 1-line block ×4, first 2 shown]
	v_fma_f64 v[50:51], v[120:121], s[34:35], v[192:193]
	v_fma_f64 v[56:57], v[120:121], s[18:19], v[194:195]
	v_mul_f64 v[114:115], v[134:135], s[6:7]
	v_mul_f64 v[184:185], v[134:135], s[38:39]
	v_add_f64 v[118:119], v[206:207], v[118:119]
	v_add_f64 v[130:131], v[232:233], v[130:131]
	v_fma_f64 v[206:207], v[122:123], s[36:37], v[116:117]
	v_mul_f64 v[128:129], v[128:129], s[52:53]
	v_add_f64 v[4:5], v[52:53], v[4:5]
	v_fma_f64 v[116:117], v[122:123], s[36:37], -v[116:117]
	v_add_f64 v[16:17], v[50:51], v[16:17]
	v_add_f64 v[22:23], v[56:57], v[22:23]
	v_fma_f64 v[50:51], v[136:137], s[18:19], v[114:115]
	v_fma_f64 v[56:57], v[136:137], s[40:41], v[184:185]
	v_mul_f64 v[202:203], v[140:141], s[30:31]
	v_mul_f64 v[224:225], v[134:135], s[24:25]
	v_add_f64 v[52:53], v[206:207], v[130:131]
	v_fma_f64 v[130:131], v[120:121], s[26:27], v[128:129]
	v_mul_f64 v[134:135], v[134:135], s[16:17]
	v_add_f64 v[4:5], v[116:117], v[4:5]
	v_fma_f64 v[116:117], v[120:121], s[26:27], -v[128:129]
	v_add_f64 v[16:17], v[50:51], v[16:17]
	v_add_f64 v[22:23], v[56:57], v[22:23]
	v_fma_f64 v[50:51], v[142:143], s[36:37], v[202:203]
	v_mul_f64 v[56:57], v[140:141], s[56:57]
	v_add_f64 v[52:53], v[130:131], v[52:53]
	v_fma_f64 v[128:129], v[136:137], s[28:29], v[134:135]
	v_mul_f64 v[218:219], v[146:147], s[54:55]
	v_add_f64 v[4:5], v[116:117], v[4:5]
	v_fma_f64 v[116:117], v[136:137], s[28:29], -v[134:135]
	v_fma_f64 v[130:131], v[58:59], s[18:19], -v[200:201]
	v_add_f64 v[16:17], v[50:51], v[16:17]
	v_fma_f64 v[50:51], v[142:143], s[12:13], v[56:57]
	v_fma_f64 v[112:113], v[58:59], s[26:27], -v[112:113]
	v_add_f64 v[52:53], v[128:129], v[52:53]
	v_fma_f64 v[128:129], v[58:59], s[20:21], -v[198:199]
	v_fma_f64 v[134:135], v[58:59], s[12:13], -v[154:155]
	;; [unrolled: 1-line block ×5, first 2 shown]
	v_add_f64 v[4:5], v[116:117], v[4:5]
	v_mul_f64 v[116:117], v[140:141], s[46:47]
	v_add_f64 v[22:23], v[50:51], v[22:23]
	v_fma_f64 v[50:51], v[148:149], s[28:29], v[218:219]
	v_add_f64 v[24:25], v[128:129], v[24:25]
	v_add_f64 v[54:55], v[130:131], v[54:55]
	;; [unrolled: 1-line block ×5, first 2 shown]
	v_fma_f64 v[58:59], v[142:143], s[18:19], v[116:117]
	v_fma_f64 v[112:113], v[122:123], s[34:35], -v[210:211]
	v_add_f64 v[16:17], v[50:51], v[16:17]
	v_mul_f64 v[50:51], v[140:141], s[38:39]
	v_fma_f64 v[128:129], v[122:123], s[12:13], -v[212:213]
	v_fma_f64 v[124:125], v[122:123], s[18:19], -v[124:125]
	v_fma_f64 v[130:131], v[122:123], s[28:29], -v[166:167]
	v_fma_f64 v[134:135], v[122:123], s[40:41], -v[168:169]
	v_fma_f64 v[140:141], v[122:123], s[20:21], -v[188:189]
	v_fma_f64 v[122:123], v[122:123], s[26:27], -v[190:191]
	v_add_f64 v[52:53], v[58:59], v[52:53]
	v_fma_f64 v[58:59], v[142:143], s[18:19], -v[116:117]
	v_add_f64 v[18:19], v[156:157], v[18:19]
	v_add_f64 v[2:3], v[154:155], v[2:3]
	;; [unrolled: 1-line block ×7, first 2 shown]
	v_fma_f64 v[112:113], v[120:121], s[36:37], -v[214:215]
	v_fma_f64 v[116:117], v[120:121], s[28:29], -v[216:217]
	v_fma_f64 v[122:123], v[120:121], s[12:13], -v[132:133]
	v_fma_f64 v[124:125], v[120:121], s[40:41], -v[164:165]
	v_fma_f64 v[128:129], v[120:121], s[20:21], -v[170:171]
	v_fma_f64 v[130:131], v[120:121], s[34:35], -v[192:193]
	v_fma_f64 v[120:121], v[120:121], s[18:19], -v[194:195]
	v_add_f64 v[4:5], v[58:59], v[4:5]
	v_mul_f64 v[58:59], v[146:147], s[10:11]
	v_add_f64 v[18:19], v[140:141], v[18:19]
	v_add_f64 v[2:3], v[134:135], v[2:3]
	v_fma_f64 v[230:231], v[136:137], s[34:35], v[224:225]
	v_add_f64 v[24:25], v[112:113], v[24:25]
	v_add_f64 v[54:55], v[116:117], v[54:55]
	;; [unrolled: 1-line block ×3, first 2 shown]
	v_fma_f64 v[120:121], v[136:137], s[34:35], -v[224:225]
	v_fma_f64 v[112:113], v[148:149], s[20:21], v[58:59]
	v_fma_f64 v[58:59], v[148:149], s[20:21], -v[58:59]
	v_add_f64 v[12:13], v[124:125], v[12:13]
	v_add_f64 v[18:19], v[130:131], v[18:19]
	v_fma_f64 v[116:117], v[136:137], s[12:13], -v[222:223]
	v_fma_f64 v[124:125], v[136:137], s[36:37], -v[162:163]
	;; [unrolled: 1-line block ×4, first 2 shown]
	v_add_f64 v[14:15], v[122:123], v[14:15]
	v_add_f64 v[2:3], v[128:129], v[2:3]
	v_fma_f64 v[122:123], v[136:137], s[20:21], -v[138:139]
	v_fma_f64 v[128:129], v[136:137], s[26:27], -v[172:173]
	v_mul_f64 v[220:221], v[146:147], s[24:25]
	v_add_f64 v[126:127], v[230:231], v[126:127]
	v_fma_f64 v[230:231], v[142:143], s[40:41], v[50:51]
	v_mul_f64 v[236:237], v[146:147], s[38:39]
	v_mul_f64 v[238:239], v[146:147], s[52:53]
	v_add_f64 v[54:55], v[120:121], v[54:55]
	v_fma_f64 v[50:51], v[142:143], s[40:41], -v[50:51]
	v_add_f64 v[4:5], v[58:59], v[4:5]
	v_mul_f64 v[58:59], v[152:153], s[56:57]
	v_add_f64 v[52:53], v[112:113], v[52:53]
	v_add_f64 v[24:25], v[116:117], v[24:25]
	;; [unrolled: 1-line block ×4, first 2 shown]
	v_fma_f64 v[112:113], v[142:143], s[26:27], -v[208:209]
	v_fma_f64 v[60:61], v[142:143], s[20:21], -v[60:61]
	;; [unrolled: 1-line block ×3, first 2 shown]
	v_add_f64 v[18:19], v[114:115], v[18:19]
	v_fma_f64 v[120:121], v[142:143], s[36:37], -v[202:203]
	v_add_f64 v[14:15], v[122:123], v[14:15]
	v_add_f64 v[2:3], v[128:129], v[2:3]
	v_fma_f64 v[114:115], v[142:143], s[28:29], -v[144:145]
	v_fma_f64 v[116:117], v[142:143], s[34:35], -v[174:175]
	v_mul_f64 v[8:9], v[152:153], s[48:49]
	v_mul_f64 v[196:197], v[152:153], s[30:31]
	v_fma_f64 v[226:227], v[148:149], s[34:35], v[220:221]
	v_mul_f64 v[228:229], v[152:153], s[52:53]
	v_mul_f64 v[234:235], v[152:153], s[16:17]
	v_add_f64 v[126:127], v[230:231], v[126:127]
	v_fma_f64 v[230:231], v[148:149], s[40:41], v[236:237]
	v_fma_f64 v[232:233], v[148:149], s[26:27], v[238:239]
	v_mul_f64 v[240:241], v[152:153], s[46:47]
	v_mul_f64 v[242:243], v[152:153], s[10:11]
	v_add_f64 v[50:51], v[50:51], v[54:55]
	v_fma_f64 v[54:55], v[158:159], s[12:13], v[58:59]
	v_add_f64 v[24:25], v[112:113], v[24:25]
	v_add_f64 v[12:13], v[60:61], v[12:13]
	;; [unrolled: 1-line block ×3, first 2 shown]
	v_fma_f64 v[56:57], v[148:149], s[40:41], -v[236:237]
	v_fma_f64 v[60:61], v[148:149], s[26:27], -v[238:239]
	v_add_f64 v[18:19], v[120:121], v[18:19]
	v_fma_f64 v[120:121], v[148:149], s[28:29], -v[218:219]
	v_fma_f64 v[122:123], v[148:149], s[34:35], -v[220:221]
	v_add_f64 v[14:15], v[114:115], v[14:15]
	v_add_f64 v[2:3], v[116:117], v[2:3]
	v_fma_f64 v[112:113], v[148:149], s[36:37], -v[150:151]
	v_fma_f64 v[114:115], v[148:149], s[18:19], -v[180:181]
	;; [unrolled: 1-line block ×3, first 2 shown]
	v_fma_f64 v[186:187], v[158:159], s[34:35], v[8:9]
	v_fma_f64 v[204:205], v[158:159], s[36:37], v[196:197]
	v_add_f64 v[22:23], v[226:227], v[22:23]
	v_fma_f64 v[226:227], v[158:159], s[26:27], v[228:229]
	v_fma_f64 v[206:207], v[158:159], s[28:29], v[234:235]
	v_add_f64 v[118:119], v[230:231], v[118:119]
	v_add_f64 v[126:127], v[232:233], v[126:127]
	v_fma_f64 v[230:231], v[158:159], s[18:19], v[240:241]
	v_fma_f64 v[232:233], v[158:159], s[20:21], v[242:243]
	v_add_f64 v[124:125], v[54:55], v[52:53]
	v_fma_f64 v[52:53], v[158:159], s[12:13], -v[58:59]
	v_add_f64 v[24:25], v[56:57], v[24:25]
	v_add_f64 v[50:51], v[60:61], v[50:51]
	v_fma_f64 v[54:55], v[158:159], s[18:19], -v[240:241]
	v_fma_f64 v[56:57], v[158:159], s[20:21], -v[242:243]
	v_add_f64 v[18:19], v[120:121], v[18:19]
	v_add_f64 v[20:21], v[122:123], v[20:21]
	v_fma_f64 v[58:59], v[158:159], s[26:27], -v[228:229]
	v_fma_f64 v[60:61], v[158:159], s[28:29], -v[234:235]
	v_add_f64 v[14:15], v[112:113], v[14:15]
	v_add_f64 v[12:13], v[114:115], v[12:13]
	;; [unrolled: 1-line block ×3, first 2 shown]
	v_fma_f64 v[8:9], v[158:159], s[34:35], -v[8:9]
	v_fma_f64 v[112:113], v[158:159], s[36:37], -v[196:197]
	;; [unrolled: 1-line block ×3, first 2 shown]
	v_add_f64 v[6:7], v[186:187], v[6:7]
	v_add_f64 v[10:11], v[204:205], v[10:11]
	;; [unrolled: 1-line block ×14, first 2 shown]
	ds_write2_b64 v111, v[6:7], v[10:11] offset0:34 offset1:51
	ds_write2_b64 v111, v[16:17], v[22:23] offset0:68 offset1:85
	;; [unrolled: 1-line block ×7, first 2 shown]
	ds_write_b64 v111, v[56:57] offset:2176
	s_waitcnt lgkmcnt(0)
	s_barrier
	v_add_u32_e32 v112, 0x2000, v107
	v_add_u32_e32 v113, 0x2c00, v107
	ds_read2_b64 v[2:5], v107 offset1:102
	ds_read2_b64 v[22:25], v108 offset0:33 offset1:135
	ds_read2_b64 v[6:9], v109 offset0:66 offset1:168
	;; [unrolled: 1-line block ×5, first 2 shown]
                                        ; implicit-def: $vgpr60_vgpr61
	s_and_saveexec_b64 s[60:61], s[2:3]
	s_cbranch_execz .LBB0_15
; %bb.14:
	ds_read_b64 v[50:51], v107 offset:1632
	ds_read_b64 v[52:53], v107 offset:3944
	;; [unrolled: 1-line block ×6, first 2 shown]
.LBB0_15:
	s_or_b64 exec, exec, s[60:61]
	v_add_f64 v[114:115], v[0:1], v[92:93]
	v_add_f64 v[94:95], v[94:95], -v[96:97]
	v_add_f64 v[96:97], v[82:83], v[98:99]
	v_add_f64 v[92:93], v[92:93], v[80:81]
	v_add_f64 v[86:87], v[86:87], -v[102:103]
	v_add_f64 v[90:91], v[90:91], -v[104:105]
	v_add_f64 v[104:105], v[84:85], v[100:101]
	v_add_f64 v[74:75], v[74:75], -v[88:89]
	v_add_f64 v[82:83], v[114:115], v[82:83]
	v_add_f64 v[64:65], v[64:65], -v[72:73]
	v_mul_f64 v[126:127], v[96:97], s[12:13]
	v_mul_f64 v[102:103], v[92:93], s[34:35]
	;; [unrolled: 1-line block ×6, first 2 shown]
	v_add_f64 v[82:83], v[82:83], v[84:85]
	v_mul_f64 v[122:123], v[92:93], s[28:29]
	v_mul_f64 v[124:125], v[92:93], s[36:37]
	;; [unrolled: 1-line block ×4, first 2 shown]
	v_fma_f64 v[148:149], v[94:95], s[48:49], v[102:103]
	v_fma_f64 v[102:103], v[94:95], s[24:25], v[102:103]
	;; [unrolled: 1-line block ×3, first 2 shown]
	v_add_f64 v[82:83], v[82:83], v[78:79]
	v_fma_f64 v[114:115], v[94:95], s[22:23], v[114:115]
	v_mul_f64 v[128:129], v[96:97], s[28:29]
	v_mul_f64 v[130:131], v[96:97], s[40:41]
	;; [unrolled: 1-line block ×6, first 2 shown]
	v_add_f64 v[82:83], v[82:83], v[66:67]
	v_mul_f64 v[138:139], v[104:105], s[18:19]
	v_mul_f64 v[140:141], v[104:105], s[28:29]
	v_fma_f64 v[152:153], v[94:95], s[46:47], v[116:117]
	v_fma_f64 v[116:117], v[94:95], s[6:7], v[116:117]
	;; [unrolled: 1-line block ×5, first 2 shown]
	v_add_f64 v[82:83], v[82:83], v[46:47]
	v_fma_f64 v[120:121], v[94:95], s[10:11], v[120:121]
	v_fma_f64 v[158:159], v[94:95], s[54:55], v[122:123]
	;; [unrolled: 1-line block ×7, first 2 shown]
	v_add_f64 v[82:83], v[82:83], v[40:41]
	v_fma_f64 v[94:95], v[90:91], s[52:53], v[84:85]
	v_fma_f64 v[84:85], v[90:91], s[22:23], v[84:85]
	;; [unrolled: 1-line block ×4, first 2 shown]
	v_add_f64 v[148:149], v[0:1], v[148:149]
	v_add_f64 v[102:103], v[0:1], v[102:103]
	;; [unrolled: 1-line block ×5, first 2 shown]
	v_mul_f64 v[142:143], v[104:105], s[40:41]
	v_mul_f64 v[144:145], v[104:105], s[20:21]
	v_fma_f64 v[166:167], v[90:91], s[54:55], v[128:129]
	v_fma_f64 v[128:129], v[90:91], s[16:17], v[128:129]
	;; [unrolled: 1-line block ×4, first 2 shown]
	v_add_f64 v[82:83], v[82:83], v[34:35]
	v_fma_f64 v[170:171], v[90:91], s[30:31], v[132:133]
	v_fma_f64 v[132:133], v[90:91], s[44:45], v[132:133]
	;; [unrolled: 1-line block ×7, first 2 shown]
	v_add_f64 v[82:83], v[82:83], v[42:43]
	v_fma_f64 v[90:91], v[90:91], s[48:49], v[96:97]
	v_fma_f64 v[96:97], v[86:87], s[46:47], v[138:139]
	;; [unrolled: 1-line block ×4, first 2 shown]
	v_add_f64 v[152:153], v[0:1], v[152:153]
	v_add_f64 v[116:117], v[0:1], v[116:117]
	;; [unrolled: 1-line block ×18, first 2 shown]
	v_mul_f64 v[146:147], v[104:105], s[26:27]
	v_add_f64 v[82:83], v[82:83], v[26:27]
	v_fma_f64 v[180:181], v[86:87], s[38:39], v[142:143]
	v_fma_f64 v[142:143], v[86:87], s[50:51], v[142:143]
	;; [unrolled: 1-line block ×3, first 2 shown]
	v_add_f64 v[114:115], v[166:167], v[152:153]
	v_add_f64 v[116:117], v[128:129], v[116:117]
	;; [unrolled: 1-line block ×8, first 2 shown]
	v_mul_f64 v[102:103], v[104:105], s[34:35]
	v_add_f64 v[120:121], v[132:133], v[120:121]
	v_add_f64 v[122:123], v[134:135], v[122:123]
	;; [unrolled: 1-line block ×4, first 2 shown]
	v_fma_f64 v[114:115], v[86:87], s[52:53], v[146:147]
	v_add_f64 v[26:27], v[78:79], v[26:27]
	v_mul_f64 v[78:79], v[104:105], s[36:37]
	v_fma_f64 v[138:139], v[86:87], s[6:7], v[138:139]
	v_fma_f64 v[144:145], v[86:87], s[42:43], v[144:145]
	;; [unrolled: 1-line block ×3, first 2 shown]
	v_add_f64 v[128:129], v[172:173], v[158:159]
	v_add_f64 v[80:81], v[82:83], v[80:81]
	;; [unrolled: 1-line block ×4, first 2 shown]
	v_mul_f64 v[126:127], v[104:105], s[12:13]
	v_fma_f64 v[104:105], v[86:87], s[48:49], v[102:103]
	v_fma_f64 v[102:103], v[86:87], s[24:25], v[102:103]
	v_add_f64 v[124:125], v[136:137], v[124:125]
	v_add_f64 v[114:115], v[114:115], v[120:121]
	v_mul_f64 v[88:89], v[26:27], s[12:13]
	v_fma_f64 v[132:133], v[86:87], s[44:45], v[78:79]
	v_fma_f64 v[78:79], v[86:87], s[30:31], v[78:79]
	;; [unrolled: 1-line block ×4, first 2 shown]
	v_add_f64 v[86:87], v[102:103], v[122:123]
	v_mul_f64 v[102:103], v[26:27], s[40:41]
	v_add_f64 v[100:101], v[130:131], v[118:119]
	v_add_f64 v[130:131], v[174:175], v[160:161]
	;; [unrolled: 1-line block ×6, first 2 shown]
	v_fma_f64 v[124:125], v[74:75], s[56:57], v[88:89]
	v_mul_f64 v[126:127], v[26:27], s[20:21]
	v_fma_f64 v[78:79], v[74:75], s[4:5], v[88:89]
	v_fma_f64 v[88:89], v[74:75], s[50:51], v[102:103]
	v_mul_f64 v[128:129], v[26:27], s[34:35]
	v_add_f64 v[118:119], v[170:171], v[156:157]
	v_add_f64 v[120:121], v[120:121], v[130:131]
	v_fma_f64 v[102:103], v[74:75], s[38:39], v[102:103]
	v_add_f64 v[90:91], v[124:125], v[90:91]
	v_mul_f64 v[124:125], v[26:27], s[18:19]
	v_fma_f64 v[130:131], v[74:75], s[10:11], v[126:127]
	v_fma_f64 v[126:127], v[74:75], s[42:43], v[126:127]
	v_add_f64 v[78:79], v[78:79], v[84:85]
	v_add_f64 v[84:85], v[88:89], v[92:93]
	v_fma_f64 v[88:89], v[74:75], s[24:25], v[128:129]
	v_add_f64 v[100:101], v[144:145], v[100:101]
	v_add_f64 v[118:119], v[184:185], v[118:119]
	;; [unrolled: 1-line block ×3, first 2 shown]
	v_fma_f64 v[94:95], v[74:75], s[48:49], v[128:129]
	v_fma_f64 v[102:103], v[74:75], s[46:47], v[124:125]
	v_add_f64 v[82:83], v[126:127], v[82:83]
	v_mul_f64 v[126:127], v[26:27], s[36:37]
	v_fma_f64 v[124:125], v[74:75], s[6:7], v[124:125]
	v_add_f64 v[88:89], v[88:89], v[116:117]
	v_mul_f64 v[116:117], v[26:27], s[28:29]
	v_add_f64 v[66:67], v[66:67], v[76:77]
	v_mul_f64 v[26:27], v[26:27], s[26:27]
	v_add_f64 v[94:95], v[94:95], v[100:101]
	v_add_f64 v[100:101], v[102:103], v[118:119]
	v_fma_f64 v[76:77], v[74:75], s[44:45], v[126:127]
	v_add_f64 v[102:103], v[124:125], v[114:115]
	v_fma_f64 v[114:115], v[74:75], s[30:31], v[126:127]
	v_fma_f64 v[118:119], v[74:75], s[16:17], v[116:117]
	;; [unrolled: 1-line block ×3, first 2 shown]
	v_mul_f64 v[72:73], v[66:67], s[20:21]
	v_fma_f64 v[124:125], v[74:75], s[22:23], v[26:27]
	v_fma_f64 v[26:27], v[74:75], s[52:53], v[26:27]
	v_add_f64 v[76:77], v[76:77], v[104:105]
	v_add_f64 v[46:47], v[46:47], v[62:63]
	;; [unrolled: 1-line block ×3, first 2 shown]
	v_mul_f64 v[86:87], v[66:67], s[36:37]
	v_add_f64 v[104:105], v[118:119], v[120:121]
	v_add_f64 v[114:115], v[116:117], v[122:123]
	v_fma_f64 v[116:117], v[64:65], s[42:43], v[72:73]
	v_mul_f64 v[118:119], v[66:67], s[26:27]
	v_add_f64 v[0:1], v[26:27], v[0:1]
	v_fma_f64 v[26:27], v[64:65], s[10:11], v[72:73]
	v_mul_f64 v[120:121], v[66:67], s[18:19]
	v_fma_f64 v[72:73], v[64:65], s[30:31], v[86:87]
	v_fma_f64 v[86:87], v[64:65], s[44:45], v[86:87]
	v_mul_f64 v[62:63], v[66:67], s[28:29]
	v_add_f64 v[90:91], v[116:117], v[90:91]
	v_mul_f64 v[116:117], v[66:67], s[40:41]
	v_fma_f64 v[122:123], v[64:65], s[22:23], v[118:119]
	v_fma_f64 v[118:119], v[64:65], s[52:53], v[118:119]
	v_add_f64 v[26:27], v[26:27], v[78:79]
	v_fma_f64 v[78:79], v[64:65], s[46:47], v[120:121]
	v_add_f64 v[72:73], v[72:73], v[84:85]
	v_add_f64 v[84:85], v[86:87], v[92:93]
	v_fma_f64 v[86:87], v[64:65], s[6:7], v[120:121]
	v_fma_f64 v[92:93], v[64:65], s[50:51], v[116:117]
	;; [unrolled: 1-line block ×3, first 2 shown]
	v_add_f64 v[82:83], v[118:119], v[82:83]
	v_mul_f64 v[118:119], v[66:67], s[12:13]
	v_add_f64 v[78:79], v[78:79], v[88:89]
	v_mul_f64 v[88:89], v[66:67], s[34:35]
	v_add_f64 v[44:45], v[44:45], -v[48:49]
	v_add_f64 v[86:87], v[86:87], v[94:95]
	v_add_f64 v[92:93], v[92:93], v[100:101]
	;; [unrolled: 1-line block ×3, first 2 shown]
	v_mul_f64 v[48:49], v[46:47], s[28:29]
	v_fma_f64 v[66:67], v[64:65], s[4:5], v[118:119]
	v_fma_f64 v[100:101], v[64:65], s[56:57], v[118:119]
	;; [unrolled: 1-line block ×6, first 2 shown]
	v_add_f64 v[98:99], v[176:177], v[162:163]
	v_add_f64 v[40:41], v[40:41], v[42:43]
	;; [unrolled: 1-line block ×5, first 2 shown]
	v_mul_f64 v[76:77], v[46:47], s[20:21]
	v_fma_f64 v[100:101], v[44:45], s[54:55], v[48:49]
	v_mul_f64 v[102:103], v[46:47], s[34:35]
	v_add_f64 v[0:1], v[62:63], v[0:1]
	v_fma_f64 v[48:49], v[44:45], s[16:17], v[48:49]
	v_mul_f64 v[62:63], v[46:47], s[36:37]
	v_add_f64 v[88:89], v[88:89], v[114:115]
	v_add_f64 v[98:99], v[132:133], v[98:99]
	v_fma_f64 v[104:105], v[44:45], s[10:11], v[76:77]
	v_fma_f64 v[76:77], v[44:45], s[42:43], v[76:77]
	v_add_f64 v[90:91], v[100:101], v[90:91]
	v_mul_f64 v[100:101], v[46:47], s[12:13]
	v_fma_f64 v[114:115], v[44:45], s[48:49], v[102:103]
	v_fma_f64 v[102:103], v[44:45], s[24:25], v[102:103]
	v_add_f64 v[26:27], v[48:49], v[26:27]
	v_fma_f64 v[48:49], v[44:45], s[44:45], v[62:63]
	v_fma_f64 v[62:63], v[44:45], s[30:31], v[62:63]
	v_add_f64 v[76:77], v[76:77], v[84:85]
	v_add_f64 v[96:97], v[130:131], v[96:97]
	v_fma_f64 v[84:85], v[44:45], s[4:5], v[100:101]
	v_add_f64 v[98:99], v[124:125], v[98:99]
	v_add_f64 v[82:83], v[102:103], v[82:83]
	v_mul_f64 v[102:103], v[46:47], s[26:27]
	v_add_f64 v[48:49], v[48:49], v[78:79]
	v_fma_f64 v[78:79], v[44:45], s[56:57], v[100:101]
	v_mul_f64 v[100:101], v[46:47], s[40:41]
	v_mul_f64 v[42:43], v[46:47], s[18:19]
	v_add_f64 v[84:85], v[84:85], v[92:93]
	v_add_f64 v[62:63], v[62:63], v[86:87]
	v_add_f64 v[36:37], v[36:37], -v[38:39]
	v_fma_f64 v[46:47], v[44:45], s[52:53], v[102:103]
	v_fma_f64 v[86:87], v[44:45], s[22:23], v[102:103]
	v_mul_f64 v[38:39], v[40:41], s[36:37]
	v_fma_f64 v[92:93], v[44:45], s[50:51], v[100:101]
	v_add_f64 v[96:97], v[122:123], v[96:97]
	v_add_f64 v[98:99], v[116:117], v[98:99]
	;; [unrolled: 1-line block ×3, first 2 shown]
	v_fma_f64 v[94:95], v[44:45], s[38:39], v[100:101]
	v_fma_f64 v[100:101], v[44:45], s[6:7], v[42:43]
	v_add_f64 v[46:47], v[46:47], v[66:67]
	v_fma_f64 v[42:43], v[44:45], s[46:47], v[42:43]
	v_add_f64 v[44:45], v[92:93], v[74:75]
	v_mul_f64 v[66:67], v[40:41], s[18:19]
	v_mul_f64 v[92:93], v[40:41], s[12:13]
	v_add_f64 v[64:65], v[86:87], v[64:65]
	v_fma_f64 v[86:87], v[36:37], s[44:45], v[38:39]
	v_fma_f64 v[38:39], v[36:37], s[30:31], v[38:39]
	v_add_f64 v[72:73], v[104:105], v[72:73]
	v_add_f64 v[96:97], v[114:115], v[96:97]
	;; [unrolled: 1-line block ×5, first 2 shown]
	v_mul_f64 v[42:43], v[40:41], s[28:29]
	v_fma_f64 v[94:95], v[36:37], s[6:7], v[66:67]
	v_fma_f64 v[98:99], v[36:37], s[56:57], v[92:93]
	;; [unrolled: 1-line block ×3, first 2 shown]
	v_add_f64 v[86:87], v[86:87], v[90:91]
	v_mul_f64 v[90:91], v[40:41], s[34:35]
	v_add_f64 v[26:27], v[38:39], v[26:27]
	v_fma_f64 v[38:39], v[36:37], s[4:5], v[92:93]
	v_fma_f64 v[92:93], v[36:37], s[16:17], v[42:43]
	v_add_f64 v[72:73], v[94:95], v[72:73]
	v_fma_f64 v[42:43], v[36:37], s[54:55], v[42:43]
	v_add_f64 v[94:95], v[98:99], v[96:97]
	v_mul_f64 v[96:97], v[40:41], s[40:41]
	v_add_f64 v[66:67], v[66:67], v[76:77]
	v_fma_f64 v[76:77], v[36:37], s[48:49], v[90:91]
	v_add_f64 v[38:39], v[38:39], v[82:83]
	v_fma_f64 v[82:83], v[36:37], s[24:25], v[90:91]
	v_mul_f64 v[90:91], v[40:41], s[26:27]
	v_add_f64 v[32:33], v[32:33], v[34:35]
	v_add_f64 v[42:43], v[42:43], v[62:63]
	v_fma_f64 v[34:35], v[36:37], s[50:51], v[96:97]
	v_fma_f64 v[62:63], v[36:37], s[38:39], v[96:97]
	v_mul_f64 v[40:41], v[40:41], s[20:21]
	v_add_f64 v[28:29], v[28:29], -v[30:31]
	v_add_f64 v[78:79], v[82:83], v[78:79]
	v_fma_f64 v[82:83], v[36:37], s[22:23], v[90:91]
	v_mul_f64 v[30:31], v[32:33], s[40:41]
	v_add_f64 v[76:77], v[76:77], v[84:85]
	v_fma_f64 v[84:85], v[36:37], s[52:53], v[90:91]
	v_add_f64 v[34:35], v[34:35], v[46:47]
	v_add_f64 v[46:47], v[62:63], v[64:65]
	v_fma_f64 v[62:63], v[36:37], s[42:43], v[40:41]
	v_mul_f64 v[64:65], v[32:33], s[34:35]
	v_add_f64 v[44:45], v[82:83], v[44:45]
	v_fma_f64 v[36:37], v[36:37], s[10:11], v[40:41]
	v_fma_f64 v[40:41], v[28:29], s[50:51], v[30:31]
	v_mul_f64 v[82:83], v[32:33], s[36:37]
	v_fma_f64 v[30:31], v[28:29], s[38:39], v[30:31]
	v_add_f64 v[74:75], v[84:85], v[74:75]
	v_add_f64 v[84:85], v[62:63], v[88:89]
	v_fma_f64 v[62:63], v[28:29], s[24:25], v[64:65]
	v_mul_f64 v[88:89], v[32:33], s[26:27]
	v_fma_f64 v[64:65], v[28:29], s[48:49], v[64:65]
	v_add_f64 v[36:37], v[36:37], v[0:1]
	v_add_f64 v[48:49], v[92:93], v[48:49]
	;; [unrolled: 1-line block ×3, first 2 shown]
	v_fma_f64 v[26:27], v[28:29], s[30:31], v[82:83]
	v_add_f64 v[40:41], v[40:41], v[86:87]
	v_fma_f64 v[86:87], v[28:29], s[44:45], v[82:83]
	v_add_f64 v[30:31], v[62:63], v[72:73]
	;; [unrolled: 2-line block ×3, first 2 shown]
	v_fma_f64 v[64:65], v[28:29], s[52:53], v[88:89]
	v_mul_f64 v[82:83], v[32:33], s[28:29]
	v_mul_f64 v[88:89], v[32:33], s[18:19]
	v_add_f64 v[66:67], v[26:27], v[38:39]
	v_mul_f64 v[26:27], v[32:33], s[20:21]
	v_mul_f64 v[32:33], v[32:33], s[12:13]
	v_add_f64 v[38:39], v[72:73], v[48:49]
	v_add_f64 v[86:87], v[86:87], v[94:95]
	;; [unrolled: 1-line block ×3, first 2 shown]
	v_fma_f64 v[42:43], v[28:29], s[54:55], v[82:83]
	v_fma_f64 v[48:49], v[28:29], s[16:17], v[82:83]
	;; [unrolled: 1-line block ×8, first 2 shown]
	v_add_f64 v[32:33], v[42:43], v[76:77]
	v_add_f64 v[64:65], v[48:49], v[78:79]
	;; [unrolled: 1-line block ×8, first 2 shown]
	s_waitcnt lgkmcnt(0)
	s_barrier
	ds_write2_b64 v111, v[80:81], v[40:41] offset1:17
	ds_write2_b64 v111, v[30:31], v[86:87] offset0:34 offset1:51
	ds_write2_b64 v111, v[38:39], v[32:33] offset0:68 offset1:85
	;; [unrolled: 1-line block ×7, first 2 shown]
	ds_write_b64 v111, v[0:1] offset:2176
	s_waitcnt lgkmcnt(0)
	s_barrier
	ds_read2_b64 v[26:29], v107 offset1:102
	ds_read2_b64 v[30:33], v108 offset0:33 offset1:135
	ds_read2_b64 v[34:37], v109 offset0:66 offset1:168
	;; [unrolled: 1-line block ×5, first 2 shown]
                                        ; implicit-def: $vgpr74_vgpr75
	s_and_saveexec_b64 s[4:5], s[2:3]
	s_cbranch_execz .LBB0_17
; %bb.16:
	ds_read_b64 v[64:65], v107 offset:1632
	ds_read_b64 v[72:73], v107 offset:3944
	;; [unrolled: 1-line block ×6, first 2 shown]
.LBB0_17:
	s_or_b64 exec, exec, s[4:5]
	s_and_saveexec_b64 s[4:5], s[0:1]
	s_cbranch_execz .LBB0_20
; %bb.18:
	v_add_u32_e32 v76, 0x66, v106
	v_mul_u32_u24_e32 v76, 5, v76
	v_lshlrev_b32_e32 v76, 4, v76
	v_add_co_u32_e32 v102, vcc, s8, v76
	v_mul_u32_u24_e32 v76, 5, v106
	v_lshlrev_b32_e32 v76, 4, v76
	v_mov_b32_e32 v77, s9
	v_add_co_u32_e64 v76, s[0:1], s8, v76
	v_addc_co_u32_e32 v107, vcc, 0, v77, vcc
	s_movk_i32 s4, 0x1100
	v_addc_co_u32_e64 v77, s[0:1], 0, v77, s[0:1]
	v_add_co_u32_e64 v104, s[0:1], s4, v76
	v_add_co_u32_e32 v100, vcc, s4, v102
	s_movk_i32 s6, 0x1000
	v_addc_co_u32_e64 v105, s[0:1], 0, v77, s[0:1]
	v_add_co_u32_e64 v92, s[0:1], s6, v76
	v_addc_co_u32_e32 v101, vcc, 0, v107, vcc
	v_addc_co_u32_e64 v93, s[0:1], 0, v77, s[0:1]
	v_add_co_u32_e32 v119, vcc, s6, v102
	global_load_dwordx4 v[76:79], v[104:105], off offset:48
	global_load_dwordx4 v[80:83], v[104:105], off offset:32
	;; [unrolled: 1-line block ×4, first 2 shown]
	s_nop 0
	global_load_dwordx4 v[92:95], v[100:101], off offset:32
	global_load_dwordx4 v[96:99], v[100:101], off offset:16
	v_addc_co_u32_e32 v120, vcc, 0, v107, vcc
	global_load_dwordx4 v[100:103], v[100:101], off offset:48
	s_nop 0
	global_load_dwordx4 v[107:110], v[119:120], off offset:320
	global_load_dwordx4 v[111:114], v[119:120], off offset:256
	;; [unrolled: 1-line block ×3, first 2 shown]
	v_mul_lo_u32 v119, s59, v70
	v_mul_lo_u32 v71, s58, v71
	v_mad_u64_u32 v[104:105], s[0:1], s58, v70, 0
	s_mov_b32 s4, 0xe8584caa
	s_mov_b32 s5, 0xbfebb67a
	v_add3_u32 v105, v105, v71, v119
	s_mov_b32 s1, 0x3febb67a
	s_mov_b32 s0, s4
	;; [unrolled: 1-line block ×3, first 2 shown]
	s_movk_i32 s11, 0x2000
	v_mov_b32_e32 v70, 0
	s_movk_i32 s10, 0x121
	s_waitcnt vmcnt(9)
	v_mul_f64 v[119:120], v[14:15], v[78:79]
	s_waitcnt lgkmcnt(1)
	v_mul_f64 v[78:79], v[42:43], v[78:79]
	s_waitcnt vmcnt(7)
	v_mul_f64 v[125:126], v[22:23], v[84:85]
	v_mul_f64 v[22:23], v[22:23], v[86:87]
	s_waitcnt vmcnt(5)
	v_mul_f64 v[129:130], v[20:21], v[94:95]
	;; [unrolled: 3-line block ×3, first 2 shown]
	v_mul_f64 v[123:124], v[10:11], v[90:91]
	v_mul_f64 v[82:83], v[46:47], v[82:83]
	s_waitcnt lgkmcnt(0)
	v_mul_f64 v[90:91], v[38:39], v[90:91]
	v_mul_f64 v[127:128], v[8:9], v[98:99]
	;; [unrolled: 1-line block ×4, first 2 shown]
	s_waitcnt vmcnt(1)
	v_mul_f64 v[135:136], v[24:25], v[111:112]
	v_mul_f64 v[109:110], v[40:41], v[109:110]
	;; [unrolled: 1-line block ×3, first 2 shown]
	v_fma_f64 v[42:43], v[42:43], v[76:77], -v[119:120]
	v_fma_f64 v[76:77], v[14:15], v[76:77], v[78:79]
	v_fma_f64 v[78:79], v[30:31], v[86:87], v[125:126]
	v_fma_f64 v[22:23], v[30:31], v[84:85], -v[22:23]
	v_fma_f64 v[14:15], v[48:49], v[92:93], -v[129:130]
	;; [unrolled: 1-line block ×3, first 2 shown]
	v_mul_f64 v[131:132], v[16:17], v[102:103]
	v_mul_f64 v[102:103], v[44:45], v[102:103]
	v_fma_f64 v[46:47], v[46:47], v[80:81], -v[121:122]
	v_fma_f64 v[38:39], v[38:39], v[88:89], -v[123:124]
	v_fma_f64 v[80:81], v[18:19], v[80:81], v[82:83]
	v_fma_f64 v[82:83], v[10:11], v[88:89], v[90:91]
	v_fma_f64 v[10:11], v[36:37], v[96:97], -v[127:128]
	v_fma_f64 v[8:9], v[8:9], v[96:97], v[98:99]
	v_fma_f64 v[18:19], v[20:21], v[92:93], v[94:95]
	;; [unrolled: 1-line block ×3, first 2 shown]
	v_fma_f64 v[24:25], v[32:33], v[111:112], -v[24:25]
	v_add_f64 v[88:89], v[14:15], v[30:31]
	v_fma_f64 v[20:21], v[44:45], v[100:101], -v[131:132]
	v_fma_f64 v[16:17], v[16:17], v[100:101], v[102:103]
	v_fma_f64 v[36:37], v[32:33], v[113:114], v[135:136]
	v_add_f64 v[84:85], v[28:29], v[10:11]
	v_add_f64 v[86:87], v[4:5], v[8:9]
	v_add_f64 v[94:95], v[14:15], -v[30:31]
	v_add_f64 v[96:97], v[18:19], v[12:13]
	v_add_f64 v[98:99], v[18:19], -v[12:13]
	v_add_f64 v[14:15], v[14:15], v[24:25]
	v_fma_f64 v[24:25], v[88:89], -0.5, v[24:25]
	v_add_f64 v[90:91], v[10:11], v[20:21]
	v_add_f64 v[92:93], v[8:9], -v[16:17]
	v_add_f64 v[10:11], v[10:11], -v[20:21]
	v_add_f64 v[8:9], v[8:9], v[16:17]
	v_add_f64 v[18:19], v[18:19], v[36:37]
	;; [unrolled: 1-line block ×3, first 2 shown]
	v_fma_f64 v[20:21], v[96:97], -0.5, v[36:37]
	v_add_f64 v[36:37], v[86:87], v[16:17]
	v_fma_f64 v[16:17], v[98:99], s[4:5], v[24:25]
	v_fma_f64 v[24:25], v[98:99], s[0:1], v[24:25]
	s_waitcnt vmcnt(0)
	v_mul_f64 v[137:138], v[6:7], v[117:118]
	v_mul_f64 v[117:118], v[34:35], v[117:118]
	v_fma_f64 v[28:29], v[90:91], -0.5, v[28:29]
	v_add_f64 v[30:31], v[30:31], v[14:15]
	v_fma_f64 v[4:5], v[8:9], -0.5, v[4:5]
	v_add_f64 v[86:87], v[12:13], v[18:19]
	v_fma_f64 v[8:9], v[94:95], s[0:1], v[20:21]
	v_fma_f64 v[12:13], v[94:95], s[4:5], v[20:21]
	v_mul_f64 v[14:15], v[16:17], -0.5
	v_mul_f64 v[18:19], v[24:25], 0.5
	v_add_f64 v[44:45], v[46:47], v[38:39]
	v_fma_f64 v[32:33], v[34:35], v[115:116], -v[137:138]
	v_fma_f64 v[34:35], v[6:7], v[115:116], v[117:118]
	v_mul_f64 v[16:17], v[16:17], s[4:5]
	v_mul_f64 v[20:21], v[24:25], s[4:5]
	v_fma_f64 v[24:25], v[92:93], s[4:5], v[28:29]
	v_fma_f64 v[28:29], v[92:93], s[0:1], v[28:29]
	;; [unrolled: 1-line block ×4, first 2 shown]
	v_add_f64 v[6:7], v[80:81], v[82:83]
	v_add_f64 v[48:49], v[80:81], -v[82:83]
	v_fma_f64 v[44:45], v[44:45], -0.5, v[22:23]
	v_fma_f64 v[94:95], v[8:9], -0.5, v[16:17]
	v_fma_f64 v[96:97], v[12:13], 0.5, v[20:21]
	v_add_f64 v[8:9], v[84:85], -v[30:31]
	v_add_f64 v[12:13], v[24:25], -v[92:93]
	;; [unrolled: 1-line block ×3, first 2 shown]
	v_add_f64 v[20:21], v[24:25], v[92:93]
	v_add_f64 v[24:25], v[28:29], v[18:19]
	;; [unrolled: 1-line block ×4, first 2 shown]
	v_add_f64 v[40:41], v[46:47], -v[38:39]
	v_add_f64 v[88:89], v[32:33], v[42:43]
	v_fma_f64 v[90:91], v[10:11], s[0:1], v[4:5]
	v_fma_f64 v[98:99], v[6:7], -0.5, v[78:79]
	v_fma_f64 v[100:101], v[48:49], s[4:5], v[44:45]
	v_fma_f64 v[44:45], v[48:49], s[0:1], v[44:45]
	v_add_f64 v[102:103], v[34:35], -v[76:77]
	v_fma_f64 v[30:31], v[30:31], -0.5, v[2:3]
	v_add_f64 v[2:3], v[2:3], v[34:35]
	v_add_f64 v[34:35], v[80:81], v[78:79]
	v_fma_f64 v[4:5], v[10:11], s[4:5], v[4:5]
	v_add_f64 v[22:23], v[46:47], v[22:23]
	v_add_f64 v[10:11], v[90:91], -v[94:95]
	v_fma_f64 v[88:89], v[88:89], -0.5, v[26:27]
	v_fma_f64 v[92:93], v[40:41], s[0:1], v[98:99]
	v_mul_f64 v[48:49], v[100:101], -0.5
	v_add_f64 v[18:19], v[90:91], v[94:95]
	v_fma_f64 v[40:41], v[40:41], s[4:5], v[98:99]
	v_mul_f64 v[90:91], v[44:45], 0.5
	v_add_f64 v[26:27], v[26:27], v[32:33]
	v_add_f64 v[32:33], v[32:33], -v[42:43]
	v_mul_f64 v[46:47], v[100:101], s[4:5]
	v_mul_f64 v[44:45], v[44:45], s[4:5]
	v_add_f64 v[2:3], v[2:3], v[76:77]
	v_add_f64 v[76:77], v[82:83], v[34:35]
	v_add_f64 v[14:15], v[4:5], -v[96:97]
	v_add_f64 v[78:79], v[38:39], v[22:23]
	v_add_f64 v[22:23], v[4:5], v[96:97]
	v_mul_hi_u32 v4, v106, s7
	v_fma_f64 v[84:85], v[102:103], s[4:5], v[88:89]
	v_fma_f64 v[48:49], v[92:93], s[0:1], v[48:49]
	;; [unrolled: 1-line block ×4, first 2 shown]
	v_add_f64 v[42:43], v[26:27], v[42:43]
	v_fma_f64 v[80:81], v[32:33], s[0:1], v[30:31]
	v_fma_f64 v[46:47], v[92:93], -0.5, v[46:47]
	v_fma_f64 v[92:93], v[32:33], s[4:5], v[30:31]
	v_fma_f64 v[94:95], v[40:41], 0.5, v[44:45]
	v_add_f64 v[38:39], v[2:3], -v[76:77]
	v_add_f64 v[76:77], v[2:3], v[76:77]
	v_lshrrev_b32_e32 v2, 8, v4
	v_mul_u32_u24_e32 v2, 0x121, v2
	v_sub_u32_e32 v71, v106, v2
	v_lshlrev_b64 v[2:3], 4, v[104:105]
	v_mov_b32_e32 v4, s15
	v_add_co_u32_e32 v5, vcc, s14, v2
	v_add_f64 v[32:33], v[84:85], -v[48:49]
	v_add_f64 v[40:41], v[42:43], -v[78:79]
	;; [unrolled: 1-line block ×3, first 2 shown]
	v_add_f64 v[44:45], v[84:85], v[48:49]
	v_add_f64 v[48:49], v[88:89], v[90:91]
	;; [unrolled: 1-line block ×5, first 2 shown]
	v_addc_co_u32_e32 v80, vcc, v4, v3, vcc
	v_lshlrev_b64 v[2:3], 4, v[68:69]
	v_add_f64 v[6:7], v[36:37], -v[86:87]
	v_add_co_u32_e32 v4, vcc, v5, v2
	v_addc_co_u32_e32 v5, vcc, v80, v3, vcc
	v_lshlrev_b32_e32 v2, 4, v71
	v_add_co_u32_e32 v2, vcc, v4, v2
	v_addc_co_u32_e32 v3, vcc, 0, v5, vcc
	v_add_f64 v[26:27], v[36:37], v[86:87]
	v_add_f64 v[36:37], v[88:89], -v[90:91]
	v_add_f64 v[34:35], v[92:93], -v[94:95]
	v_add_co_u32_e32 v68, vcc, s6, v2
	v_addc_co_u32_e32 v69, vcc, 0, v3, vcc
	global_store_dwordx4 v[68:69], v[46:49], off offset:528
	global_store_dwordx4 v[2:3], v[76:79], off
	v_add_co_u32_e32 v46, vcc, s11, v2
	v_addc_co_u32_e32 v47, vcc, 0, v3, vcc
	s_movk_i32 s11, 0x3000
	global_store_dwordx4 v[46:47], v[42:45], off offset:1056
	s_nop 0
	v_add_co_u32_e32 v42, vcc, s11, v2
	v_addc_co_u32_e32 v43, vcc, 0, v3, vcc
	s_movk_i32 s11, 0x4000
	global_store_dwordx4 v[42:43], v[38:41], off offset:1584
	s_nop 0
	v_add_co_u32_e32 v38, vcc, s11, v2
	v_addc_co_u32_e32 v39, vcc, 0, v3, vcc
	global_store_dwordx4 v[38:39], v[34:37], off offset:2112
	s_movk_i32 s11, 0x5000
	v_add_u32_e32 v34, 0x66, v106
	v_mul_hi_u32 v35, v34, s7
	v_add_co_u32_e32 v2, vcc, s11, v2
	v_addc_co_u32_e32 v3, vcc, 0, v3, vcc
	global_store_dwordx4 v[2:3], v[30:33], off offset:2640
	v_lshrrev_b32_e32 v2, 8, v35
	v_mul_u32_u24_e32 v3, 0x121, v2
	v_sub_u32_e32 v3, v34, v3
	s_movk_i32 s7, 0x6c6
	v_mad_u32_u24 v69, v2, s7, v3
	v_lshlrev_b64 v[2:3], 4, v[69:70]
	v_add_co_u32_e32 v2, vcc, v4, v2
	v_addc_co_u32_e32 v3, vcc, v5, v3, vcc
	global_store_dwordx4 v[2:3], v[26:29], off
	v_add_u32_e32 v2, 0x121, v69
	v_mov_b32_e32 v3, v70
	v_lshlrev_b64 v[2:3], 4, v[2:3]
	v_add_co_u32_e32 v2, vcc, v4, v2
	v_addc_co_u32_e32 v3, vcc, v5, v3, vcc
	global_store_dwordx4 v[2:3], v[22:25], off
	v_add_u32_e32 v2, 0x242, v69
	v_mov_b32_e32 v3, v70
	;; [unrolled: 6-line block ×4, first 2 shown]
	v_lshlrev_b64 v[2:3], 4, v[2:3]
	v_add_u32_e32 v69, 0x5a5, v69
	v_add_co_u32_e32 v2, vcc, v4, v2
	v_addc_co_u32_e32 v3, vcc, v5, v3, vcc
	global_store_dwordx4 v[2:3], v[14:17], off
	v_lshlrev_b64 v[2:3], 4, v[69:70]
	v_add_co_u32_e32 v2, vcc, v4, v2
	v_addc_co_u32_e32 v3, vcc, v5, v3, vcc
	global_store_dwordx4 v[2:3], v[10:13], off
	v_add_u32_e32 v2, 0xcc, v106
	v_cmp_gt_u32_e32 vcc, s10, v2
	s_and_b64 exec, exec, vcc
	s_cbranch_execz .LBB0_20
; %bb.19:
	v_mov_b32_e32 v3, 0xffffffab
	v_mov_b32_e32 v6, 0xcc
	v_cndmask_b32_e64 v3, v3, v6, s[2:3]
	v_add_u32_e32 v3, v106, v3
	v_mul_i32_i24_e32 v69, 5, v3
	v_lshlrev_b64 v[6:7], 4, v[69:70]
	v_mov_b32_e32 v3, s9
	v_add_co_u32_e32 v6, vcc, s8, v6
	v_addc_co_u32_e32 v3, vcc, v3, v7, vcc
	v_add_co_u32_e32 v26, vcc, 0x1100, v6
	v_addc_co_u32_e32 v27, vcc, 0, v3, vcc
	v_add_co_u32_e32 v28, vcc, s6, v6
	global_load_dwordx4 v[6:9], v[26:27], off offset:32
	global_load_dwordx4 v[10:13], v[26:27], off offset:16
	v_addc_co_u32_e32 v29, vcc, 0, v3, vcc
	global_load_dwordx4 v[14:17], v[28:29], off offset:320
	global_load_dwordx4 v[18:21], v[28:29], off offset:256
	;; [unrolled: 1-line block ×3, first 2 shown]
	v_mov_b32_e32 v3, v70
	v_lshlrev_b64 v[2:3], 4, v[2:3]
	v_add_u32_e32 v69, 0x1ed, v106
	v_add_co_u32_e32 v26, vcc, v4, v2
	v_addc_co_u32_e32 v27, vcc, v5, v3, vcc
	v_lshlrev_b64 v[2:3], 4, v[69:70]
	v_add_u32_e32 v69, 0x30e, v106
	v_lshlrev_b64 v[28:29], 4, v[69:70]
	v_add_co_u32_e32 v30, vcc, v4, v2
	v_add_u32_e32 v69, 0x42f, v106
	v_addc_co_u32_e32 v31, vcc, v5, v3, vcc
	v_lshlrev_b64 v[2:3], 4, v[69:70]
	v_add_co_u32_e32 v28, vcc, v4, v28
	v_addc_co_u32_e32 v29, vcc, v5, v29, vcc
	v_add_co_u32_e32 v34, vcc, v4, v2
	v_addc_co_u32_e32 v35, vcc, v5, v3, vcc
	v_add_u32_e32 v69, 0x550, v106
	v_lshlrev_b64 v[32:33], 4, v[69:70]
	v_add_u32_e32 v69, 0x671, v106
	v_lshlrev_b64 v[36:37], 4, v[69:70]
	v_add_co_u32_e32 v32, vcc, v4, v32
	v_addc_co_u32_e32 v33, vcc, v5, v33, vcc
	v_add_co_u32_e32 v4, vcc, v4, v36
	v_addc_co_u32_e32 v5, vcc, v5, v37, vcc
	s_waitcnt vmcnt(4)
	v_mul_f64 v[38:39], v[62:63], v[8:9]
	v_mul_f64 v[8:9], v[54:55], v[8:9]
	s_waitcnt vmcnt(2)
	v_mul_f64 v[40:41], v[60:61], v[16:17]
	v_mul_f64 v[2:3], v[66:67], v[12:13]
	v_mul_f64 v[12:13], v[58:59], v[12:13]
	s_waitcnt vmcnt(1)
	v_mul_f64 v[42:43], v[72:73], v[20:21]
	v_mul_f64 v[20:21], v[52:53], v[20:21]
	s_waitcnt vmcnt(0)
	v_mul_f64 v[44:45], v[0:1], v[24:25]
	v_mul_f64 v[24:25], v[56:57], v[24:25]
	;; [unrolled: 1-line block ×3, first 2 shown]
	v_fma_f64 v[8:9], v[62:63], v[6:7], -v[8:9]
	v_fma_f64 v[40:41], v[74:75], v[14:15], -v[40:41]
	v_fma_f64 v[2:3], v[58:59], v[10:11], v[2:3]
	v_fma_f64 v[10:11], v[66:67], v[10:11], -v[12:13]
	v_fma_f64 v[6:7], v[54:55], v[6:7], v[38:39]
	v_fma_f64 v[12:13], v[56:57], v[22:23], v[44:45]
	v_fma_f64 v[0:1], v[0:1], v[22:23], -v[24:25]
	v_fma_f64 v[22:23], v[52:53], v[18:19], v[42:43]
	v_fma_f64 v[14:15], v[60:61], v[14:15], v[16:17]
	v_fma_f64 v[16:17], v[72:73], v[18:19], -v[20:21]
	v_add_f64 v[18:19], v[8:9], v[40:41]
	v_add_f64 v[20:21], v[50:51], v[2:3]
	;; [unrolled: 1-line block ×4, first 2 shown]
	v_add_f64 v[42:43], v[10:11], -v[0:1]
	v_add_f64 v[10:11], v[10:11], v[0:1]
	v_add_f64 v[44:45], v[6:7], v[14:15]
	v_add_f64 v[46:47], v[6:7], -v[14:15]
	v_fma_f64 v[18:19], v[18:19], -0.5, v[16:17]
	v_add_f64 v[2:3], v[2:3], -v[12:13]
	v_add_f64 v[6:7], v[22:23], v[6:7]
	v_add_f64 v[48:49], v[8:9], -v[40:41]
	v_add_f64 v[8:9], v[16:17], v[8:9]
	v_add_f64 v[12:13], v[20:21], v[12:13]
	v_fma_f64 v[16:17], v[44:45], -0.5, v[22:23]
	v_add_f64 v[20:21], v[24:25], v[0:1]
	v_fma_f64 v[0:1], v[46:47], s[0:1], v[18:19]
	v_fma_f64 v[18:19], v[46:47], s[4:5], v[18:19]
	v_fma_f64 v[22:23], v[38:39], -0.5, v[50:51]
	v_fma_f64 v[10:11], v[10:11], -0.5, v[64:65]
	v_add_f64 v[6:7], v[6:7], v[14:15]
	v_add_f64 v[8:9], v[8:9], v[40:41]
	v_fma_f64 v[14:15], v[48:49], s[4:5], v[16:17]
	v_fma_f64 v[16:17], v[48:49], s[0:1], v[16:17]
	v_mul_f64 v[24:25], v[0:1], s[4:5]
	v_mul_f64 v[0:1], v[0:1], 0.5
	v_mul_f64 v[38:39], v[18:19], s[4:5]
	v_mul_f64 v[18:19], v[18:19], -0.5
	v_fma_f64 v[40:41], v[42:43], s[4:5], v[22:23]
	v_fma_f64 v[22:23], v[42:43], s[0:1], v[22:23]
	;; [unrolled: 1-line block ×4, first 2 shown]
	v_fma_f64 v[24:25], v[14:15], 0.5, v[24:25]
	v_fma_f64 v[46:47], v[14:15], s[0:1], v[0:1]
	v_fma_f64 v[38:39], v[16:17], -0.5, v[38:39]
	v_fma_f64 v[48:49], v[16:17], s[0:1], v[18:19]
	v_add_f64 v[0:1], v[12:13], v[6:7]
	v_add_f64 v[2:3], v[20:21], v[8:9]
	v_add_f64 v[6:7], v[12:13], -v[6:7]
	v_add_f64 v[8:9], v[20:21], -v[8:9]
	v_add_f64 v[10:11], v[40:41], v[24:25]
	v_add_f64 v[12:13], v[42:43], v[46:47]
	;; [unrolled: 1-line block ×4, first 2 shown]
	v_add_f64 v[18:19], v[40:41], -v[24:25]
	v_add_f64 v[20:21], v[42:43], -v[46:47]
	;; [unrolled: 1-line block ×4, first 2 shown]
	global_store_dwordx4 v[26:27], v[0:3], off
	global_store_dwordx4 v[34:35], v[6:9], off
	;; [unrolled: 1-line block ×6, first 2 shown]
.LBB0_20:
	s_endpgm
	.section	.rodata,"a",@progbits
	.p2align	6, 0x0
	.amdhsa_kernel fft_rtc_back_len1734_factors_17_17_6_wgs_102_tpt_102_halfLds_dp_op_CI_CI_unitstride_sbrr_dirReg
		.amdhsa_group_segment_fixed_size 0
		.amdhsa_private_segment_fixed_size 0
		.amdhsa_kernarg_size 104
		.amdhsa_user_sgpr_count 6
		.amdhsa_user_sgpr_private_segment_buffer 1
		.amdhsa_user_sgpr_dispatch_ptr 0
		.amdhsa_user_sgpr_queue_ptr 0
		.amdhsa_user_sgpr_kernarg_segment_ptr 1
		.amdhsa_user_sgpr_dispatch_id 0
		.amdhsa_user_sgpr_flat_scratch_init 0
		.amdhsa_user_sgpr_private_segment_size 0
		.amdhsa_uses_dynamic_stack 0
		.amdhsa_system_sgpr_private_segment_wavefront_offset 0
		.amdhsa_system_sgpr_workgroup_id_x 1
		.amdhsa_system_sgpr_workgroup_id_y 0
		.amdhsa_system_sgpr_workgroup_id_z 0
		.amdhsa_system_sgpr_workgroup_info 0
		.amdhsa_system_vgpr_workitem_id 0
		.amdhsa_next_free_vgpr 244
		.amdhsa_next_free_sgpr 62
		.amdhsa_reserve_vcc 1
		.amdhsa_reserve_flat_scratch 0
		.amdhsa_float_round_mode_32 0
		.amdhsa_float_round_mode_16_64 0
		.amdhsa_float_denorm_mode_32 3
		.amdhsa_float_denorm_mode_16_64 3
		.amdhsa_dx10_clamp 1
		.amdhsa_ieee_mode 1
		.amdhsa_fp16_overflow 0
		.amdhsa_exception_fp_ieee_invalid_op 0
		.amdhsa_exception_fp_denorm_src 0
		.amdhsa_exception_fp_ieee_div_zero 0
		.amdhsa_exception_fp_ieee_overflow 0
		.amdhsa_exception_fp_ieee_underflow 0
		.amdhsa_exception_fp_ieee_inexact 0
		.amdhsa_exception_int_div_zero 0
	.end_amdhsa_kernel
	.text
.Lfunc_end0:
	.size	fft_rtc_back_len1734_factors_17_17_6_wgs_102_tpt_102_halfLds_dp_op_CI_CI_unitstride_sbrr_dirReg, .Lfunc_end0-fft_rtc_back_len1734_factors_17_17_6_wgs_102_tpt_102_halfLds_dp_op_CI_CI_unitstride_sbrr_dirReg
                                        ; -- End function
	.section	.AMDGPU.csdata,"",@progbits
; Kernel info:
; codeLenInByte = 17436
; NumSgprs: 66
; NumVgprs: 244
; ScratchSize: 0
; MemoryBound: 1
; FloatMode: 240
; IeeeMode: 1
; LDSByteSize: 0 bytes/workgroup (compile time only)
; SGPRBlocks: 8
; VGPRBlocks: 60
; NumSGPRsForWavesPerEU: 66
; NumVGPRsForWavesPerEU: 244
; Occupancy: 1
; WaveLimiterHint : 1
; COMPUTE_PGM_RSRC2:SCRATCH_EN: 0
; COMPUTE_PGM_RSRC2:USER_SGPR: 6
; COMPUTE_PGM_RSRC2:TRAP_HANDLER: 0
; COMPUTE_PGM_RSRC2:TGID_X_EN: 1
; COMPUTE_PGM_RSRC2:TGID_Y_EN: 0
; COMPUTE_PGM_RSRC2:TGID_Z_EN: 0
; COMPUTE_PGM_RSRC2:TIDIG_COMP_CNT: 0
	.type	__hip_cuid_a16ae5195c3e3d80,@object ; @__hip_cuid_a16ae5195c3e3d80
	.section	.bss,"aw",@nobits
	.globl	__hip_cuid_a16ae5195c3e3d80
__hip_cuid_a16ae5195c3e3d80:
	.byte	0                               ; 0x0
	.size	__hip_cuid_a16ae5195c3e3d80, 1

	.ident	"AMD clang version 19.0.0git (https://github.com/RadeonOpenCompute/llvm-project roc-6.4.0 25133 c7fe45cf4b819c5991fe208aaa96edf142730f1d)"
	.section	".note.GNU-stack","",@progbits
	.addrsig
	.addrsig_sym __hip_cuid_a16ae5195c3e3d80
	.amdgpu_metadata
---
amdhsa.kernels:
  - .args:
      - .actual_access:  read_only
        .address_space:  global
        .offset:         0
        .size:           8
        .value_kind:     global_buffer
      - .offset:         8
        .size:           8
        .value_kind:     by_value
      - .actual_access:  read_only
        .address_space:  global
        .offset:         16
        .size:           8
        .value_kind:     global_buffer
      - .actual_access:  read_only
        .address_space:  global
        .offset:         24
        .size:           8
        .value_kind:     global_buffer
      - .actual_access:  read_only
        .address_space:  global
        .offset:         32
        .size:           8
        .value_kind:     global_buffer
      - .offset:         40
        .size:           8
        .value_kind:     by_value
      - .actual_access:  read_only
        .address_space:  global
        .offset:         48
        .size:           8
        .value_kind:     global_buffer
      - .actual_access:  read_only
        .address_space:  global
        .offset:         56
        .size:           8
        .value_kind:     global_buffer
      - .offset:         64
        .size:           4
        .value_kind:     by_value
      - .actual_access:  read_only
        .address_space:  global
        .offset:         72
        .size:           8
        .value_kind:     global_buffer
      - .actual_access:  read_only
        .address_space:  global
        .offset:         80
        .size:           8
        .value_kind:     global_buffer
      - .actual_access:  read_only
        .address_space:  global
        .offset:         88
        .size:           8
        .value_kind:     global_buffer
      - .actual_access:  write_only
        .address_space:  global
        .offset:         96
        .size:           8
        .value_kind:     global_buffer
    .group_segment_fixed_size: 0
    .kernarg_segment_align: 8
    .kernarg_segment_size: 104
    .language:       OpenCL C
    .language_version:
      - 2
      - 0
    .max_flat_workgroup_size: 102
    .name:           fft_rtc_back_len1734_factors_17_17_6_wgs_102_tpt_102_halfLds_dp_op_CI_CI_unitstride_sbrr_dirReg
    .private_segment_fixed_size: 0
    .sgpr_count:     66
    .sgpr_spill_count: 0
    .symbol:         fft_rtc_back_len1734_factors_17_17_6_wgs_102_tpt_102_halfLds_dp_op_CI_CI_unitstride_sbrr_dirReg.kd
    .uniform_work_group_size: 1
    .uses_dynamic_stack: false
    .vgpr_count:     244
    .vgpr_spill_count: 0
    .wavefront_size: 64
amdhsa.target:   amdgcn-amd-amdhsa--gfx906
amdhsa.version:
  - 1
  - 2
...

	.end_amdgpu_metadata
